;; amdgpu-corpus repo=ROCm/rocFFT kind=compiled arch=gfx1030 opt=O3
	.text
	.amdgcn_target "amdgcn-amd-amdhsa--gfx1030"
	.amdhsa_code_object_version 6
	.protected	fft_rtc_back_len1496_factors_17_8_11_wgs_187_tpt_187_halfLds_half_ip_CI_unitstride_sbrr_R2C_dirReg ; -- Begin function fft_rtc_back_len1496_factors_17_8_11_wgs_187_tpt_187_halfLds_half_ip_CI_unitstride_sbrr_R2C_dirReg
	.globl	fft_rtc_back_len1496_factors_17_8_11_wgs_187_tpt_187_halfLds_half_ip_CI_unitstride_sbrr_R2C_dirReg
	.p2align	8
	.type	fft_rtc_back_len1496_factors_17_8_11_wgs_187_tpt_187_halfLds_half_ip_CI_unitstride_sbrr_R2C_dirReg,@function
fft_rtc_back_len1496_factors_17_8_11_wgs_187_tpt_187_halfLds_half_ip_CI_unitstride_sbrr_R2C_dirReg: ; @fft_rtc_back_len1496_factors_17_8_11_wgs_187_tpt_187_halfLds_half_ip_CI_unitstride_sbrr_R2C_dirReg
; %bb.0:
	s_clause 0x2
	s_load_dwordx4 s[8:11], s[4:5], 0x0
	s_load_dwordx2 s[2:3], s[4:5], 0x50
	s_load_dwordx2 s[12:13], s[4:5], 0x18
	v_mul_u32_u24_e32 v1, 0x15f, v0
	v_mov_b32_e32 v3, 0
	v_add_nc_u32_sdwa v5, s6, v1 dst_sel:DWORD dst_unused:UNUSED_PAD src0_sel:DWORD src1_sel:WORD_1
	v_mov_b32_e32 v1, 0
	v_mov_b32_e32 v6, v3
	v_mov_b32_e32 v2, 0
	s_waitcnt lgkmcnt(0)
	v_cmp_lt_u64_e64 s0, s[10:11], 2
	s_and_b32 vcc_lo, exec_lo, s0
	s_cbranch_vccnz .LBB0_8
; %bb.1:
	s_load_dwordx2 s[0:1], s[4:5], 0x10
	v_mov_b32_e32 v1, 0
	s_add_u32 s6, s12, 8
	v_mov_b32_e32 v2, 0
	s_addc_u32 s7, s13, 0
	s_mov_b64 s[16:17], 1
	s_waitcnt lgkmcnt(0)
	s_add_u32 s14, s0, 8
	s_addc_u32 s15, s1, 0
.LBB0_2:                                ; =>This Inner Loop Header: Depth=1
	s_load_dwordx2 s[18:19], s[14:15], 0x0
                                        ; implicit-def: $vgpr7_vgpr8
	s_mov_b32 s0, exec_lo
	s_waitcnt lgkmcnt(0)
	v_or_b32_e32 v4, s19, v6
	v_cmpx_ne_u64_e32 0, v[3:4]
	s_xor_b32 s1, exec_lo, s0
	s_cbranch_execz .LBB0_4
; %bb.3:                                ;   in Loop: Header=BB0_2 Depth=1
	v_cvt_f32_u32_e32 v4, s18
	v_cvt_f32_u32_e32 v7, s19
	s_sub_u32 s0, 0, s18
	s_subb_u32 s20, 0, s19
	v_fmac_f32_e32 v4, 0x4f800000, v7
	v_rcp_f32_e32 v4, v4
	v_mul_f32_e32 v4, 0x5f7ffffc, v4
	v_mul_f32_e32 v7, 0x2f800000, v4
	v_trunc_f32_e32 v7, v7
	v_fmac_f32_e32 v4, 0xcf800000, v7
	v_cvt_u32_f32_e32 v7, v7
	v_cvt_u32_f32_e32 v4, v4
	v_mul_lo_u32 v8, s0, v7
	v_mul_hi_u32 v9, s0, v4
	v_mul_lo_u32 v10, s20, v4
	v_add_nc_u32_e32 v8, v9, v8
	v_mul_lo_u32 v9, s0, v4
	v_add_nc_u32_e32 v8, v8, v10
	v_mul_hi_u32 v10, v4, v9
	v_mul_lo_u32 v11, v4, v8
	v_mul_hi_u32 v12, v4, v8
	v_mul_hi_u32 v13, v7, v9
	v_mul_lo_u32 v9, v7, v9
	v_mul_hi_u32 v14, v7, v8
	v_mul_lo_u32 v8, v7, v8
	v_add_co_u32 v10, vcc_lo, v10, v11
	v_add_co_ci_u32_e32 v11, vcc_lo, 0, v12, vcc_lo
	v_add_co_u32 v9, vcc_lo, v10, v9
	v_add_co_ci_u32_e32 v9, vcc_lo, v11, v13, vcc_lo
	v_add_co_ci_u32_e32 v10, vcc_lo, 0, v14, vcc_lo
	v_add_co_u32 v8, vcc_lo, v9, v8
	v_add_co_ci_u32_e32 v9, vcc_lo, 0, v10, vcc_lo
	v_add_co_u32 v4, vcc_lo, v4, v8
	v_add_co_ci_u32_e32 v7, vcc_lo, v7, v9, vcc_lo
	v_mul_hi_u32 v8, s0, v4
	v_mul_lo_u32 v10, s20, v4
	v_mul_lo_u32 v9, s0, v7
	v_add_nc_u32_e32 v8, v8, v9
	v_mul_lo_u32 v9, s0, v4
	v_add_nc_u32_e32 v8, v8, v10
	v_mul_hi_u32 v10, v4, v9
	v_mul_lo_u32 v11, v4, v8
	v_mul_hi_u32 v12, v4, v8
	v_mul_hi_u32 v13, v7, v9
	v_mul_lo_u32 v9, v7, v9
	v_mul_hi_u32 v14, v7, v8
	v_mul_lo_u32 v8, v7, v8
	v_add_co_u32 v10, vcc_lo, v10, v11
	v_add_co_ci_u32_e32 v11, vcc_lo, 0, v12, vcc_lo
	v_add_co_u32 v9, vcc_lo, v10, v9
	v_add_co_ci_u32_e32 v9, vcc_lo, v11, v13, vcc_lo
	v_add_co_ci_u32_e32 v10, vcc_lo, 0, v14, vcc_lo
	v_add_co_u32 v8, vcc_lo, v9, v8
	v_add_co_ci_u32_e32 v9, vcc_lo, 0, v10, vcc_lo
	v_add_co_u32 v4, vcc_lo, v4, v8
	v_add_co_ci_u32_e32 v11, vcc_lo, v7, v9, vcc_lo
	v_mul_hi_u32 v13, v5, v4
	v_mad_u64_u32 v[9:10], null, v6, v4, 0
	v_mad_u64_u32 v[7:8], null, v5, v11, 0
	;; [unrolled: 1-line block ×3, first 2 shown]
	v_add_co_u32 v4, vcc_lo, v13, v7
	v_add_co_ci_u32_e32 v7, vcc_lo, 0, v8, vcc_lo
	v_add_co_u32 v4, vcc_lo, v4, v9
	v_add_co_ci_u32_e32 v4, vcc_lo, v7, v10, vcc_lo
	v_add_co_ci_u32_e32 v7, vcc_lo, 0, v12, vcc_lo
	v_add_co_u32 v4, vcc_lo, v4, v11
	v_add_co_ci_u32_e32 v9, vcc_lo, 0, v7, vcc_lo
	v_mul_lo_u32 v10, s19, v4
	v_mad_u64_u32 v[7:8], null, s18, v4, 0
	v_mul_lo_u32 v11, s18, v9
	v_sub_co_u32 v7, vcc_lo, v5, v7
	v_add3_u32 v8, v8, v11, v10
	v_sub_nc_u32_e32 v10, v6, v8
	v_subrev_co_ci_u32_e64 v10, s0, s19, v10, vcc_lo
	v_add_co_u32 v11, s0, v4, 2
	v_add_co_ci_u32_e64 v12, s0, 0, v9, s0
	v_sub_co_u32 v13, s0, v7, s18
	v_sub_co_ci_u32_e32 v8, vcc_lo, v6, v8, vcc_lo
	v_subrev_co_ci_u32_e64 v10, s0, 0, v10, s0
	v_cmp_le_u32_e32 vcc_lo, s18, v13
	v_cmp_eq_u32_e64 s0, s19, v8
	v_cndmask_b32_e64 v13, 0, -1, vcc_lo
	v_cmp_le_u32_e32 vcc_lo, s19, v10
	v_cndmask_b32_e64 v14, 0, -1, vcc_lo
	v_cmp_le_u32_e32 vcc_lo, s18, v7
	;; [unrolled: 2-line block ×3, first 2 shown]
	v_cndmask_b32_e64 v15, 0, -1, vcc_lo
	v_cmp_eq_u32_e32 vcc_lo, s19, v10
	v_cndmask_b32_e64 v7, v15, v7, s0
	v_cndmask_b32_e32 v10, v14, v13, vcc_lo
	v_add_co_u32 v13, vcc_lo, v4, 1
	v_add_co_ci_u32_e32 v14, vcc_lo, 0, v9, vcc_lo
	v_cmp_ne_u32_e32 vcc_lo, 0, v10
	v_cndmask_b32_e32 v8, v14, v12, vcc_lo
	v_cndmask_b32_e32 v10, v13, v11, vcc_lo
	v_cmp_ne_u32_e32 vcc_lo, 0, v7
	v_cndmask_b32_e32 v8, v9, v8, vcc_lo
	v_cndmask_b32_e32 v7, v4, v10, vcc_lo
.LBB0_4:                                ;   in Loop: Header=BB0_2 Depth=1
	s_andn2_saveexec_b32 s0, s1
	s_cbranch_execz .LBB0_6
; %bb.5:                                ;   in Loop: Header=BB0_2 Depth=1
	v_cvt_f32_u32_e32 v4, s18
	s_sub_i32 s1, 0, s18
	v_rcp_iflag_f32_e32 v4, v4
	v_mul_f32_e32 v4, 0x4f7ffffe, v4
	v_cvt_u32_f32_e32 v4, v4
	v_mul_lo_u32 v7, s1, v4
	v_mul_hi_u32 v7, v4, v7
	v_add_nc_u32_e32 v4, v4, v7
	v_mul_hi_u32 v4, v5, v4
	v_mul_lo_u32 v7, v4, s18
	v_add_nc_u32_e32 v8, 1, v4
	v_sub_nc_u32_e32 v7, v5, v7
	v_subrev_nc_u32_e32 v9, s18, v7
	v_cmp_le_u32_e32 vcc_lo, s18, v7
	v_cndmask_b32_e32 v7, v7, v9, vcc_lo
	v_cndmask_b32_e32 v4, v4, v8, vcc_lo
	v_cmp_le_u32_e32 vcc_lo, s18, v7
	v_add_nc_u32_e32 v8, 1, v4
	v_cndmask_b32_e32 v7, v4, v8, vcc_lo
	v_mov_b32_e32 v8, v3
.LBB0_6:                                ;   in Loop: Header=BB0_2 Depth=1
	s_or_b32 exec_lo, exec_lo, s0
	s_load_dwordx2 s[0:1], s[6:7], 0x0
	v_mul_lo_u32 v4, v8, s18
	v_mul_lo_u32 v11, v7, s19
	v_mad_u64_u32 v[9:10], null, v7, s18, 0
	s_add_u32 s16, s16, 1
	s_addc_u32 s17, s17, 0
	s_add_u32 s6, s6, 8
	s_addc_u32 s7, s7, 0
	;; [unrolled: 2-line block ×3, first 2 shown]
	v_add3_u32 v4, v10, v11, v4
	v_sub_co_u32 v5, vcc_lo, v5, v9
	v_sub_co_ci_u32_e32 v4, vcc_lo, v6, v4, vcc_lo
	s_waitcnt lgkmcnt(0)
	v_mul_lo_u32 v6, s1, v5
	v_mul_lo_u32 v4, s0, v4
	v_mad_u64_u32 v[1:2], null, s0, v5, v[1:2]
	v_cmp_ge_u64_e64 s0, s[16:17], s[10:11]
	s_and_b32 vcc_lo, exec_lo, s0
	v_add3_u32 v2, v6, v2, v4
	s_cbranch_vccnz .LBB0_9
; %bb.7:                                ;   in Loop: Header=BB0_2 Depth=1
	v_mov_b32_e32 v5, v7
	v_mov_b32_e32 v6, v8
	s_branch .LBB0_2
.LBB0_8:
	v_mov_b32_e32 v8, v6
	v_mov_b32_e32 v7, v5
.LBB0_9:
	s_lshl_b64 s[0:1], s[10:11], 3
	v_mul_hi_u32 v3, 0x15e75bc, v0
	s_add_u32 s0, s12, s0
	s_addc_u32 s1, s13, s1
	s_load_dwordx2 s[0:1], s[0:1], 0x0
	s_load_dwordx2 s[4:5], s[4:5], 0x20
	v_mul_u32_u24_e32 v3, 0xbb, v3
	s_waitcnt lgkmcnt(0)
	v_mul_lo_u32 v4, s0, v8
	v_mul_lo_u32 v5, s1, v7
	v_mad_u64_u32 v[1:2], null, s0, v7, v[1:2]
	v_cmp_gt_u64_e32 vcc_lo, s[4:5], v[7:8]
	v_add3_u32 v2, v5, v2, v4
	v_sub_nc_u32_e32 v4, v0, v3
	v_lshlrev_b64 v[6:7], 2, v[1:2]
	v_lshl_add_u32 v22, v4, 2, 0
	s_and_saveexec_b32 s1, vcc_lo
	s_cbranch_execz .LBB0_11
; %bb.10:
	v_mov_b32_e32 v5, 0
	v_add_co_u32 v2, s0, s2, v6
	v_add_co_ci_u32_e64 v3, s0, s3, v7, s0
	v_lshlrev_b64 v[0:1], 2, v[4:5]
	v_add_nc_u32_e32 v12, 0xb00, v22
	v_add_nc_u32_e32 v13, 0x1100, v22
	v_add_co_u32 v0, s0, v2, v0
	v_add_co_ci_u32_e64 v1, s0, v3, v1, s0
	v_add_co_u32 v2, s0, 0x800, v0
	v_add_co_ci_u32_e64 v3, s0, 0, v1, s0
	;; [unrolled: 2-line block ×3, first 2 shown]
	s_clause 0x7
	global_load_dword v5, v[0:1], off
	global_load_dword v10, v[0:1], off offset:748
	global_load_dword v0, v[0:1], off offset:1496
	;; [unrolled: 1-line block ×7, first 2 shown]
	v_add_nc_u32_e32 v9, 0x500, v22
	s_waitcnt vmcnt(6)
	ds_write2_b32 v22, v5, v10 offset1:187
	s_waitcnt vmcnt(4)
	ds_write2_b32 v9, v0, v1 offset0:54 offset1:241
	s_waitcnt vmcnt(2)
	ds_write2_b32 v12, v11, v2 offset0:44 offset1:231
	;; [unrolled: 2-line block ×3, first 2 shown]
.LBB0_11:
	s_or_b32 exec_lo, exec_lo, s1
	s_waitcnt lgkmcnt(0)
	s_barrier
	buffer_gl0_inv
	ds_read2_b32 v[12:13], v22 offset1:88
	v_add_nc_u32_e32 v0, 0x200, v22
	ds_read_b32 v23, v22 offset:5632
	v_add_nc_u32_e32 v1, 0x1200, v22
	v_add_nc_u32_e32 v5, 0x400, v22
	s_mov_b32 s1, exec_lo
	ds_read2_b32 v[20:21], v0 offset0:48 offset1:136
	ds_read2_b32 v[2:3], v1 offset0:80 offset1:168
	;; [unrolled: 1-line block ×3, first 2 shown]
	v_add_nc_u32_e32 v0, 0x1000, v22
	v_add_nc_u32_e32 v1, 0x800, v22
	ds_read2_b32 v[8:9], v0 offset0:32 offset1:120
	v_add_nc_u32_e32 v0, 0xc00, v22
	ds_read2_b32 v[16:17], v1 offset0:16 offset1:104
	ds_read2_b32 v[10:11], v0 offset0:112 offset1:200
	v_add_nc_u32_e32 v0, 0xa00, v22
	s_waitcnt lgkmcnt(6)
	v_pk_add_f16 v55, v13, v23 op_sel:[1,1] op_sel_hi:[0,0] neg_lo:[0,1] neg_hi:[0,1]
	v_pk_add_f16 v40, v23, v13 op_sel:[1,1] op_sel_hi:[0,0]
	ds_read2_b32 v[14:15], v0 offset0:64 offset1:152
	s_waitcnt lgkmcnt(0)
	v_pk_mul_f16 v41, 0xb836b1e1, v55
	v_pk_add_f16 v34, v3, v20
	v_pk_add_f16 v35, v20, v3 neg_lo:[0,1] neg_hi:[0,1]
	v_pk_add_f16 v29, v2, v21
	v_pk_add_f16 v33, v21, v2 neg_lo:[0,1] neg_hi:[0,1]
	v_pk_fma_f16 v0, 0xbbddbacd, v40, v41 op_sel:[0,0,1] op_sel_hi:[1,1,0]
	v_pk_mul_f16 v50, 0x37223b76, v34
	v_pk_add_f16 v26, v9, v18
	v_pk_mul_f16 v46, 0x2de8bacd, v29
	v_pk_add_f16 v28, v18, v9 neg_lo:[0,1] neg_hi:[0,1]
	v_pk_add_f16 v0, v12, v0 op_sel:[1,0] op_sel_hi:[0,1]
	v_pk_fma_f16 v1, 0x35c83b29, v35, v50 op_sel:[0,0,1] op_sel_hi:[1,1,0]
	v_pk_add_f16 v24, v8, v19
	v_pk_mul_f16 v47, 0xb8d239e9, v26
	v_pk_fma_f16 v5, 0xb836bbf7, v33, v46 op_sel:[0,0,1] op_sel_hi:[1,1,0]
	v_pk_add_f16 v30, v19, v8 neg_lo:[0,1] neg_hi:[0,1]
	v_pk_add_f16 v0, v1, v0
	v_pk_add_f16 v25, v11, v16
	v_pk_mul_f16 v1, 0xb1e1b836, v55
	v_pk_mul_f16 v51, 0x3b76b8d2, v24
	v_pk_fma_f16 v36, 0x39643a62, v28, v47 op_sel:[0,0,1] op_sel_hi:[1,1,0]
	v_pk_add_f16 v0, v5, v0
	v_pk_add_f16 v31, v16, v11 neg_lo:[0,1] neg_hi:[0,1]
	v_pk_add_f16 v27, v10, v17
	v_pk_mul_f16 v48, 0xbbdd3722, v25
	v_pk_fma_f16 v5, 0xbacdbbdd, v40, v1 op_sel:[0,0,1] op_sel_hi:[1,1,0] neg_lo:[0,0,1] neg_hi:[0,0,1]
	v_pk_fma_f16 v44, 0xbacdbbdd, v40, v1 op_sel:[0,0,1] op_sel_hi:[1,1,0]
	v_pk_fma_f16 v37, 0xba62b5c8, v30, v51 op_sel:[0,0,1] op_sel_hi:[1,1,0]
	v_pk_add_f16 v0, v36, v0
	v_pk_mul_f16 v38, 0x3b763722, v34
	v_pk_add_f16 v32, v17, v10 neg_lo:[0,1] neg_hi:[0,1]
	v_pk_mul_f16 v45, 0x39e9b461, v27
	v_pk_fma_f16 v36, 0x3b29b1e1, v31, v48 op_sel:[0,0,1] op_sel_hi:[1,1,0]
	v_bfi_b32 v5, 0xffff, v44, v5
	v_pk_add_f16 v0, v37, v0
	v_pk_fma_f16 v37, 0x3b2935c8, v35, v38 op_sel:[0,0,1] op_sel_hi:[1,1,0] neg_lo:[0,1,0] neg_hi:[0,1,0]
	v_pk_fma_f16 v49, 0x3b2935c8, v35, v38 op_sel:[0,0,1] op_sel_hi:[1,1,0]
	v_pk_mul_f16 v39, 0xbacd2de8, v29
	v_pk_fma_f16 v42, 0xbbb23964, v32, v45 op_sel:[0,0,1] op_sel_hi:[1,1,0]
	v_pk_add_f16 v0, v36, v0
	v_pk_add_f16 v5, v12, v5 op_sel:[1,0] op_sel_hi:[0,1]
	v_bfi_b32 v36, 0xffff, v49, v37
	v_pk_fma_f16 v37, 0xbbf7b836, v33, v39 op_sel:[0,0,1] op_sel_hi:[1,1,0] neg_lo:[0,1,0] neg_hi:[0,1,0]
	v_pk_fma_f16 v43, 0xbbf7b836, v33, v39 op_sel:[0,0,1] op_sel_hi:[1,1,0]
	v_pk_mul_f16 v52, 0x39e9b8d2, v26
	v_alignbit_b32 v1, v41, v1, 16
	v_pk_add_f16 v0, v42, v0
	v_pk_add_f16 v5, v36, v5
	v_bfi_b32 v53, 0xffff, v43, v37
	v_pk_fma_f16 v54, 0x3a623964, v28, v52 op_sel:[0,0,1] op_sel_hi:[1,1,0] neg_lo:[0,1,0] neg_hi:[0,1,0]
	v_pk_fma_f16 v42, 0x3a623964, v28, v52 op_sel:[0,0,1] op_sel_hi:[1,1,0]
	v_pk_fma_f16 v1, 0xbbdd, v40, v1 op_sel_hi:[0,1,1] neg_lo:[0,0,1] neg_hi:[0,0,1]
	v_alignbit_b32 v38, v50, v38, 16
	v_pk_add_f16 v5, v53, v5
	v_pk_mul_f16 v56, 0xb8d23b76, v24
	v_bfi_b32 v53, 0xffff, v42, v54
	v_pk_add_f16 v1, v12, v1 op_sel:[1,0] op_sel_hi:[0,1]
	v_pk_fma_f16 v38, 0xb5c8, v35, v38 op_sel_hi:[0,1,1]
	v_alignbit_b32 v39, v46, v39, 16
	v_pk_fma_f16 v57, 0xb5c8ba62, v30, v56 op_sel:[0,0,1] op_sel_hi:[1,1,0] neg_lo:[0,1,0] neg_hi:[0,1,0]
	v_pk_add_f16 v5, v53, v5
	v_pk_fma_f16 v53, 0xb5c8ba62, v30, v56 op_sel:[0,0,1] op_sel_hi:[1,1,0]
	v_pk_mul_f16 v58, 0x3722bbdd, v25
	v_pk_add_f16 v1, v38, v1
	v_pk_fma_f16 v38, 0x3836, v33, v39 op_sel_hi:[0,1,1]
	v_alignbit_b32 v39, v47, v52, 16
	v_bfi_b32 v57, 0xffff, v53, v57
	v_pk_fma_f16 v59, 0xb1e13b29, v31, v58 op_sel:[0,0,1] op_sel_hi:[1,1,0] neg_lo:[0,1,0] neg_hi:[0,1,0]
	v_pk_fma_f16 v52, 0xb1e13b29, v31, v58 op_sel:[0,0,1] op_sel_hi:[1,1,0]
	v_pk_add_f16 v1, v38, v1
	v_pk_fma_f16 v38, 0xb964, v28, v39 op_sel_hi:[0,1,1]
	v_alignbit_b32 v39, v51, v56, 16
	v_pk_add_f16 v36, v15, v14
	v_pk_add_f16 v5, v57, v5
	v_pk_mul_f16 v56, 0xb46139e9, v27
	v_bfi_b32 v57, 0xffff, v52, v59
	v_pk_add_f16 v1, v38, v1
	v_pk_fma_f16 v59, 0x3a62, v30, v39 op_sel_hi:[0,1,1]
	v_alignbit_b32 v58, v48, v58, 16
	v_pk_add_f16 v37, v14, v15 neg_lo:[0,1] neg_hi:[0,1]
	v_pk_mul_f16 v54, 0xb4612de8, v36
	v_pk_fma_f16 v60, 0x3964bbb2, v32, v56 op_sel:[0,0,1] op_sel_hi:[1,1,0] neg_lo:[0,1,0] neg_hi:[0,1,0]
	v_pk_fma_f16 v38, 0x3964bbb2, v32, v56 op_sel:[0,0,1] op_sel_hi:[1,1,0]
	v_pk_mul_f16 v39, 0x2de8b461, v36
	v_pk_add_f16 v1, v59, v1
	v_pk_fma_f16 v58, 0xbb29, v31, v58 op_sel_hi:[0,1,1]
	v_alignbit_b32 v56, v45, v56, 16
	v_pk_add_f16 v5, v57, v5
	v_bfi_b32 v57, 0xffff, v38, v60
	v_pk_fma_f16 v59, 0xbbb23bf7, v37, v39 op_sel:[0,0,1] op_sel_hi:[1,1,0] neg_lo:[0,1,0] neg_hi:[0,1,0]
	v_pk_add_f16 v1, v58, v1
	v_pk_fma_f16 v56, 0x3bb2, v32, v56 op_sel_hi:[0,1,1]
	v_alignbit_b32 v58, v54, v39, 16
	v_pk_fma_f16 v60, 0xbbb23bf7, v37, v39 op_sel:[0,0,1] op_sel_hi:[1,1,0]
	v_pk_add_f16 v57, v57, v5
	v_pk_fma_f16 v5, 0x3bf7bbb2, v37, v54 op_sel:[0,0,1] op_sel_hi:[1,1,0]
	v_pk_add_f16 v1, v56, v1
	v_pk_fma_f16 v56, 0xbbf7, v37, v58 op_sel_hi:[0,1,1]
	v_bfi_b32 v58, 0xffff, v60, v59
	s_barrier
	v_pk_add_f16 v5, v5, v0
	buffer_gl0_inv
	v_pk_add_f16 v0, v56, v1
	v_pk_add_f16 v1, v58, v57
	v_cmpx_gt_u32_e32 0x58, v4
	s_cbranch_execz .LBB0_13
; %bb.12:
	v_pk_add_f16 v13, v12, v13
	v_lshrrev_b32_e32 v57, 16, v55
	v_mul_f16_e32 v62, 0xba62, v55
	v_mul_f16_e32 v63, 0xbbf7, v55
	v_mul_f16_e32 v64, 0xbb29, v55
	v_pk_add_f16 v13, v13, v20
	v_mul_f16_e32 v65, 0xb964, v55
	v_mul_f16_e32 v59, 0x2de8, v40
	v_mul_f16_e32 v60, 0x39e9, v40
	v_mul_f16_e32 v61, 0x3b76, v40
	v_pk_add_f16 v13, v13, v21
	v_mul_f16_e32 v21, 0xbbb2, v55
	v_mul_f16_e32 v56, 0xb8d2, v40
	v_mul_f16_e32 v58, 0xb461, v40
	v_mul_f16_e32 v20, 0x3722, v40
	v_pk_add_f16 v13, v13, v18
	v_mul_f16_e32 v18, 0xb5c8, v55
	v_lshrrev_b32_e32 v55, 16, v40
	v_fmamk_f16 v66, v57, 0x3a62, v56
	v_fmamk_f16 v67, v57, 0x3bb2, v58
	v_pk_add_f16 v13, v13, v19
	v_fmamk_f16 v19, v57, 0x3bf7, v59
	v_fmamk_f16 v71, v55, 0x3b76, v18
	v_fma_f16 v72, v55, 0x3b76, -v18
	v_pk_mul_f16 v18, 0x35c83b29, v35
	v_pk_add_f16 v13, v13, v16
	v_fmamk_f16 v16, v57, 0x3964, v60
	v_add_f16_sdwa v74, v12, v19 dst_sel:DWORD dst_unused:UNUSED_PAD src0_sel:WORD_1 src1_sel:DWORD
	v_alignbit_b32 v19, v12, v12, 16
	v_fmamk_f16 v68, v57, 0x3b29, v20
	v_pk_add_f16 v13, v13, v17
	v_fmamk_f16 v17, v57, 0x35c8, v61
	v_add_f16_sdwa v76, v12, v16 dst_sel:DWORD dst_unused:UNUSED_PAD src0_sel:WORD_1 src1_sel:DWORD
	v_alignbit_b32 v16, v50, v50, 16
	v_fmac_f16_e32 v56, 0xba62, v57
	v_pk_add_f16 v13, v13, v14
	v_fmamk_f16 v14, v55, 0xb461, v21
	v_add_f16_sdwa v77, v12, v17 dst_sel:DWORD dst_unused:UNUSED_PAD src0_sel:WORD_1 src1_sel:DWORD
	v_pk_mul_f16 v17, 0xb836bbf7, v33
	v_fmac_f16_e32 v58, 0xbbb2, v57
	v_pk_add_f16 v70, v13, v15
	v_fmamk_f16 v13, v55, 0x3722, v64
	v_add_f16_e32 v73, v12, v14
	v_alignbit_b32 v14, v41, v41, 16
	v_fma_f16 v15, v55, 0x3722, -v64
	v_pk_mul_f16 v41, 0xba62b5c8, v30
	v_add_f16_e32 v75, v12, v13
	v_pk_mul_f16 v13, 0xbbddbacd, v40
	v_fmac_f16_e32 v59, 0xbbf7, v57
	v_fmac_f16_e32 v20, 0xbb29, v57
	;; [unrolled: 1-line block ×4, first 2 shown]
	v_sub_f16_e32 v13, v13, v14
	v_sub_f16_e32 v14, v16, v18
	v_alignbit_b32 v16, v46, v46, 16
	v_add_f16_e32 v18, v12, v15
	v_fmamk_f16 v57, v55, 0xb8d2, v62
	v_add_f16_e32 v13, v19, v13
	v_pk_add_f16 v19, v19, v44
	v_fma_f16 v62, v55, 0xb8d2, -v62
	v_fma_f16 v21, v55, 0xb461, -v21
	v_fmamk_f16 v69, v55, 0x2de8, v63
	v_add_f16_e32 v13, v14, v13
	v_sub_f16_e32 v14, v16, v17
	v_alignbit_b32 v16, v47, v47, 16
	v_pk_mul_f16 v17, 0x39643a62, v28
	v_pk_mul_f16 v47, 0x3b29b1e1, v31
	v_fma_f16 v63, v55, 0x2de8, -v63
	v_add_f16_e32 v13, v14, v13
	v_fmamk_f16 v64, v55, 0x39e9, v65
	v_sub_f16_e32 v14, v16, v17
	v_alignbit_b32 v16, v51, v51, 16
	v_fma_f16 v65, v55, 0x39e9, -v65
	v_alignbit_b32 v44, v45, v45, 16
	v_pk_mul_f16 v45, 0xbbb23964, v32
	v_add_f16_e32 v14, v14, v13
	v_sub_f16_e32 v15, v16, v41
	v_alignbit_b32 v41, v48, v48, 16
	v_pk_add_f16 v19, v49, v19
	v_add_f16_sdwa v66, v12, v66 dst_sel:DWORD dst_unused:UNUSED_PAD src0_sel:WORD_1 src1_sel:DWORD
	v_add_f16_e32 v57, v12, v57
	v_add_f16_e32 v14, v15, v14
	v_sub_f16_e32 v41, v41, v47
	v_mov_b32_e32 v47, 0xb461
	v_add_f16_sdwa v67, v12, v67 dst_sel:DWORD dst_unused:UNUSED_PAD src0_sel:WORD_1 src1_sel:DWORD
	v_add_f16_e32 v69, v12, v69
	v_add_f16_sdwa v68, v12, v68 dst_sel:DWORD dst_unused:UNUSED_PAD src0_sel:WORD_1 src1_sel:DWORD
	v_add_f16_e32 v64, v12, v64
	v_add_f16_e32 v71, v12, v71
	v_add_f16_sdwa v56, v12, v56 dst_sel:DWORD dst_unused:UNUSED_PAD src0_sel:WORD_1 src1_sel:DWORD
	v_add_f16_e32 v55, v12, v62
	v_add_f16_sdwa v50, v12, v58 dst_sel:DWORD dst_unused:UNUSED_PAD src0_sel:WORD_1 src1_sel:DWORD
	v_add_f16_e32 v46, v12, v21
	v_add_f16_sdwa v40, v12, v59 dst_sel:DWORD dst_unused:UNUSED_PAD src0_sel:WORD_1 src1_sel:DWORD
	v_add_f16_e32 v21, v12, v63
	v_add_f16_sdwa v20, v12, v20 dst_sel:DWORD dst_unused:UNUSED_PAD src0_sel:WORD_1 src1_sel:DWORD
	v_add_f16_sdwa v17, v12, v60 dst_sel:DWORD dst_unused:UNUSED_PAD src0_sel:WORD_1 src1_sel:DWORD
	v_add_f16_e32 v16, v12, v65
	v_add_f16_sdwa v13, v12, v61 dst_sel:DWORD dst_unused:UNUSED_PAD src0_sel:WORD_1 src1_sel:DWORD
	v_add_f16_e32 v15, v12, v72
	v_add_f16_e32 v12, v41, v14
	v_sub_f16_e32 v14, v44, v45
	v_pk_add_f16 v19, v43, v19
	v_alignbit_b32 v41, v54, v54, 16
	v_pk_mul_f16 v43, 0x3bf7bbb2, v37
	v_mul_f16_sdwa v44, v34, v47 dst_sel:DWORD dst_unused:UNUSED_PAD src0_sel:WORD_1 src1_sel:DWORD
	v_mov_b32_e32 v45, 0x3b76
	v_add_f16_e32 v12, v14, v12
	v_pk_add_f16 v14, v42, v19
	v_sub_f16_e32 v19, v41, v43
	v_fmamk_f16 v41, v35, 0xbbb2, v44
	v_mul_f16_sdwa v42, v29, v45 dst_sel:DWORD dst_unused:UNUSED_PAD src0_sel:WORD_1 src1_sel:DWORD
	v_mov_b32_e32 v43, 0xbacd
	v_mov_b32_e32 v48, 0x3bb2
	v_pk_add_f16 v14, v53, v14
	v_add_f16_e32 v41, v41, v66
	v_fmamk_f16 v49, v33, 0x35c8, v42
	v_mul_f16_sdwa v51, v26, v43 dst_sel:DWORD dst_unused:UNUSED_PAD src0_sel:WORD_1 src1_sel:DWORD
	v_mul_f16_sdwa v53, v35, v48 dst_sel:DWORD dst_unused:UNUSED_PAD src0_sel:WORD_1 src1_sel:DWORD
	v_mov_b32_e32 v54, 0xb5c8
	v_add_f16_e32 v12, v19, v12
	v_add_f16_e32 v19, v49, v41
	v_fmamk_f16 v41, v28, 0x3836, v51
	v_pk_add_f16 v14, v52, v14
	v_fmamk_f16 v49, v34, 0xb461, v53
	v_mul_f16_sdwa v52, v33, v54 dst_sel:DWORD dst_unused:UNUSED_PAD src0_sel:WORD_1 src1_sel:DWORD
	v_mov_b32_e32 v58, 0xb836
	v_mov_b32_e32 v59, 0x2de8
	v_add_f16_e32 v19, v41, v19
	v_add_f16_e32 v41, v49, v57
	v_fmamk_f16 v49, v29, 0x3b76, v52
	v_mul_f16_sdwa v57, v28, v58 dst_sel:DWORD dst_unused:UNUSED_PAD src0_sel:WORD_1 src1_sel:DWORD
	v_mov_b32_e32 v60, 0x3bf7
	v_mul_f16_sdwa v61, v24, v59 dst_sel:DWORD dst_unused:UNUSED_PAD src0_sel:WORD_1 src1_sel:DWORD
	v_mov_b32_e32 v62, 0x39e9
	v_add_f16_e32 v41, v49, v41
	v_fmamk_f16 v49, v26, 0xbacd, v57
	v_mul_f16_sdwa v63, v30, v60 dst_sel:DWORD dst_unused:UNUSED_PAD src0_sel:WORD_1 src1_sel:DWORD
	v_mov_b32_e32 v65, 0xb964
	v_fmamk_f16 v66, v30, 0xbbf7, v61
	v_mul_f16_sdwa v72, v25, v62 dst_sel:DWORD dst_unused:UNUSED_PAD src0_sel:WORD_1 src1_sel:DWORD
	v_add_f16_e32 v41, v49, v41
	v_fmamk_f16 v49, v24, 0x2de8, v63
	v_mul_f16_sdwa v78, v31, v65 dst_sel:DWORD dst_unused:UNUSED_PAD src0_sel:WORD_1 src1_sel:DWORD
	v_pk_add_f16 v10, v70, v10
	v_add_f16_e32 v66, v66, v19
	v_fmamk_f16 v70, v31, 0x3964, v72
	v_add_f16_e32 v41, v49, v41
	v_fmamk_f16 v49, v25, 0x39e9, v78
	v_mul_f16_sdwa v79, v34, v43 dst_sel:DWORD dst_unused:UNUSED_PAD src0_sel:WORD_1 src1_sel:DWORD
	v_pk_add_f16 v19, v10, v11
	v_add_f16_e32 v10, v70, v66
	v_mov_b32_e32 v66, 0xb1e1
	v_add_f16_e32 v11, v49, v41
	v_fmamk_f16 v41, v35, 0xb836, v79
	v_mul_f16_sdwa v49, v29, v62 dst_sel:DWORD dst_unused:UNUSED_PAD src0_sel:WORD_1 src1_sel:DWORD
	v_mov_b32_e32 v70, 0x3722
	v_mul_f16_sdwa v80, v32, v66 dst_sel:DWORD dst_unused:UNUSED_PAD src0_sel:WORD_1 src1_sel:DWORD
	v_mov_b32_e32 v81, 0x3b29
	v_add_f16_e32 v41, v41, v67
	v_fmamk_f16 v67, v33, 0xb964, v49
	v_mul_f16_sdwa v82, v26, v70 dst_sel:DWORD dst_unused:UNUSED_PAD src0_sel:WORD_1 src1_sel:DWORD
	v_mov_b32_e32 v83, 0xbbdd
	v_fmamk_f16 v84, v27, 0xbbdd, v80
	v_mul_f16_sdwa v85, v37, v81 dst_sel:DWORD dst_unused:UNUSED_PAD src0_sel:WORD_1 src1_sel:DWORD
	v_add_f16_e32 v41, v67, v41
	v_fmamk_f16 v67, v28, 0x3b29, v82
	v_mul_f16_sdwa v86, v24, v83 dst_sel:DWORD dst_unused:UNUSED_PAD src0_sel:WORD_1 src1_sel:DWORD
	v_add_f16_e32 v11, v84, v11
	v_fmamk_f16 v84, v36, 0x3722, v85
	v_mov_b32_e32 v87, 0x3836
	v_add_f16_e32 v41, v67, v41
	v_fmamk_f16 v67, v30, 0x31e1, v86
	v_mov_b32_e32 v89, 0x3964
	v_add_f16_e32 v11, v84, v11
	v_mul_f16_sdwa v84, v25, v59 dst_sel:DWORD dst_unused:UNUSED_PAD src0_sel:WORD_1 src1_sel:DWORD
	v_mul_f16_sdwa v88, v35, v87 dst_sel:DWORD dst_unused:UNUSED_PAD src0_sel:WORD_1 src1_sel:DWORD
	v_add_f16_e32 v41, v67, v41
	v_mul_f16_sdwa v93, v27, v45 dst_sel:DWORD dst_unused:UNUSED_PAD src0_sel:WORD_1 src1_sel:DWORD
	v_mul_f16_sdwa v90, v33, v89 dst_sel:DWORD dst_unused:UNUSED_PAD src0_sel:WORD_1 src1_sel:DWORD
	v_fmamk_f16 v92, v31, 0xbbf7, v84
	v_fmamk_f16 v67, v34, 0xbacd, v88
	v_mov_b32_e32 v91, 0xbb29
	v_mov_b32_e32 v95, 0xb8d2
	v_mul_f16_sdwa v97, v34, v83 dst_sel:DWORD dst_unused:UNUSED_PAD src0_sel:WORD_1 src1_sel:DWORD
	v_add_f16_e32 v41, v92, v41
	v_fmamk_f16 v92, v32, 0x35c8, v93
	v_add_f16_e32 v67, v67, v73
	v_fmamk_f16 v73, v29, 0x39e9, v90
	v_mul_f16_sdwa v94, v28, v91 dst_sel:DWORD dst_unused:UNUSED_PAD src0_sel:WORD_1 src1_sel:DWORD
	v_fmamk_f16 v99, v35, 0x31e1, v97
	v_add_f16_e32 v41, v92, v41
	v_mul_f16_sdwa v92, v36, v95 dst_sel:DWORD dst_unused:UNUSED_PAD src0_sel:WORD_1 src1_sel:DWORD
	v_mul_f16_sdwa v100, v29, v47 dst_sel:DWORD dst_unused:UNUSED_PAD src0_sel:WORD_1 src1_sel:DWORD
	v_add_f16_e32 v67, v73, v67
	v_fmamk_f16 v73, v26, 0x3722, v94
	v_mul_f16_sdwa v96, v30, v66 dst_sel:DWORD dst_unused:UNUSED_PAD src0_sel:WORD_1 src1_sel:DWORD
	v_fmamk_f16 v98, v37, 0x3a62, v92
	v_add_f16_e32 v74, v99, v74
	v_fmamk_f16 v99, v33, 0xbbb2, v100
	v_mul_f16_sdwa v102, v26, v45 dst_sel:DWORD dst_unused:UNUSED_PAD src0_sel:WORD_1 src1_sel:DWORD
	v_add_f16_e32 v67, v73, v67
	v_fmamk_f16 v73, v24, 0xbbdd, v96
	v_mul_f16_sdwa v60, v31, v60 dst_sel:DWORD dst_unused:UNUSED_PAD src0_sel:WORD_1 src1_sel:DWORD
	v_add_f16_e32 v41, v98, v41
	v_add_f16_e32 v74, v99, v74
	v_fmamk_f16 v98, v28, 0xb5c8, v102
	v_mul_f16_sdwa v99, v35, v66 dst_sel:DWORD dst_unused:UNUSED_PAD src0_sel:WORD_1 src1_sel:DWORD
	v_add_f16_e32 v67, v73, v67
	v_fmamk_f16 v73, v25, 0x2de8, v60
	v_mul_f16_sdwa v101, v32, v54 dst_sel:DWORD dst_unused:UNUSED_PAD src0_sel:WORD_1 src1_sel:DWORD
	;; [unrolled: 3-line block ×3, first 2 shown]
	v_mov_b32_e32 v105, 0x35c8
	v_add_f16_e32 v67, v73, v67
	v_fmamk_f16 v73, v27, 0x3b76, v101
	v_mul_f16_sdwa v103, v24, v70 dst_sel:DWORD dst_unused:UNUSED_PAD src0_sel:WORD_1 src1_sel:DWORD
	v_add_f16_e32 v69, v98, v69
	v_fmamk_f16 v98, v29, 0xb461, v104
	v_mul_f16_sdwa v108, v28, v105 dst_sel:DWORD dst_unused:UNUSED_PAD src0_sel:WORD_1 src1_sel:DWORD
	v_add_f16_e32 v67, v73, v67
	v_mov_b32_e32 v73, 0xba62
	v_fmamk_f16 v106, v30, 0x3b29, v103
	v_mul_f16_sdwa v107, v25, v43 dst_sel:DWORD dst_unused:UNUSED_PAD src0_sel:WORD_1 src1_sel:DWORD
	v_add_f16_e32 v69, v98, v69
	v_fmamk_f16 v98, v26, 0x3b76, v108
	v_mul_f16_sdwa v110, v30, v91 dst_sel:DWORD dst_unused:UNUSED_PAD src0_sel:WORD_1 src1_sel:DWORD
	v_mul_f16_sdwa v112, v34, v95 dst_sel:DWORD dst_unused:UNUSED_PAD src0_sel:WORD_1 src1_sel:DWORD
	;; [unrolled: 1-line block ×3, first 2 shown]
	v_add_f16_e32 v74, v106, v74
	v_fmamk_f16 v106, v31, 0x3836, v107
	v_add_f16_e32 v69, v98, v69
	v_fmamk_f16 v98, v24, 0x3722, v110
	v_fmamk_f16 v115, v35, 0x3a62, v112
	v_mul_f16_sdwa v116, v29, v83 dst_sel:DWORD dst_unused:UNUSED_PAD src0_sel:WORD_1 src1_sel:DWORD
	v_fmamk_f16 v111, v36, 0xb8d2, v109
	v_add_f16_e32 v74, v106, v74
	v_mul_f16_sdwa v106, v27, v95 dst_sel:DWORD dst_unused:UNUSED_PAD src0_sel:WORD_1 src1_sel:DWORD
	v_add_f16_e32 v69, v98, v69
	v_add_f16_e32 v68, v115, v68
	v_fmamk_f16 v98, v33, 0xb1e1, v116
	v_mul_f16_sdwa v115, v26, v47 dst_sel:DWORD dst_unused:UNUSED_PAD src0_sel:WORD_1 src1_sel:DWORD
	v_mul_f16_sdwa v113, v31, v58 dst_sel:DWORD dst_unused:UNUSED_PAD src0_sel:WORD_1 src1_sel:DWORD
	v_mov_b32_e32 v114, 0x3a62
	v_fmamk_f16 v117, v32, 0xba62, v106
	v_mul_f16_sdwa v118, v36, v62 dst_sel:DWORD dst_unused:UNUSED_PAD src0_sel:WORD_1 src1_sel:DWORD
	v_add_f16_e32 v67, v111, v67
	v_add_f16_e32 v68, v98, v68
	v_fmamk_f16 v98, v28, 0xbbb2, v115
	v_mul_f16_sdwa v111, v24, v62 dst_sel:DWORD dst_unused:UNUSED_PAD src0_sel:WORD_1 src1_sel:DWORD
	v_fmamk_f16 v119, v25, 0xbacd, v113
	v_mul_f16_sdwa v114, v32, v114 dst_sel:DWORD dst_unused:UNUSED_PAD src0_sel:WORD_1 src1_sel:DWORD
	v_add_f16_e32 v74, v117, v74
	v_fmamk_f16 v117, v37, 0xb964, v118
	v_add_f16_e32 v68, v98, v68
	v_fmamk_f16 v98, v30, 0xb964, v111
	v_mul_f16_sdwa v121, v25, v45 dst_sel:DWORD dst_unused:UNUSED_PAD src0_sel:WORD_1 src1_sel:DWORD
	v_add_f16_e32 v69, v119, v69
	v_fmamk_f16 v119, v27, 0xb8d2, v114
	v_add_f16_e32 v74, v117, v74
	v_add_f16_e32 v68, v98, v68
	v_mul_f16_sdwa v98, v35, v73 dst_sel:DWORD dst_unused:UNUSED_PAD src0_sel:WORD_1 src1_sel:DWORD
	v_mov_b32_e32 v117, 0x31e1
	v_fmamk_f16 v122, v31, 0x35c8, v121
	v_mul_f16_sdwa v123, v27, v59 dst_sel:DWORD dst_unused:UNUSED_PAD src0_sel:WORD_1 src1_sel:DWORD
	v_add_f16_e32 v69, v119, v69
	v_fmamk_f16 v119, v34, 0xb8d2, v98
	v_mul_f16_sdwa v117, v33, v117 dst_sel:DWORD dst_unused:UNUSED_PAD src0_sel:WORD_1 src1_sel:DWORD
	v_add_f16_e32 v68, v122, v68
	v_fmamk_f16 v122, v32, 0x3bf7, v123
	v_mul_f16_sdwa v124, v36, v43 dst_sel:DWORD dst_unused:UNUSED_PAD src0_sel:WORD_1 src1_sel:DWORD
	v_mul_f16_sdwa v120, v37, v89 dst_sel:DWORD dst_unused:UNUSED_PAD src0_sel:WORD_1 src1_sel:DWORD
	v_add_f16_e32 v75, v119, v75
	v_fmamk_f16 v119, v29, 0xbbdd, v117
	v_mul_f16_sdwa v125, v28, v48 dst_sel:DWORD dst_unused:UNUSED_PAD src0_sel:WORD_1 src1_sel:DWORD
	v_add_f16_e32 v68, v122, v68
	v_fmamk_f16 v122, v37, 0x3836, v124
	v_fmamk_f16 v126, v36, 0x39e9, v120
	v_add_f16_e32 v75, v119, v75
	v_fmamk_f16 v119, v26, 0xb461, v125
	v_mul_f16_sdwa v89, v30, v89 dst_sel:DWORD dst_unused:UNUSED_PAD src0_sel:WORD_1 src1_sel:DWORD
	v_add_f16_e32 v68, v122, v68
	v_mul_f16_sdwa v122, v34, v59 dst_sel:DWORD dst_unused:UNUSED_PAD src0_sel:WORD_1 src1_sel:DWORD
	v_fma_f16 v53, v34, 0xb461, -v53
	v_add_f16_e32 v69, v126, v69
	v_add_f16_e32 v75, v119, v75
	v_fmamk_f16 v119, v24, 0x39e9, v89
	v_mul_f16_sdwa v54, v31, v54 dst_sel:DWORD dst_unused:UNUSED_PAD src0_sel:WORD_1 src1_sel:DWORD
	v_mov_b32_e32 v126, 0xbbf7
	v_fmamk_f16 v127, v35, 0x3bf7, v122
	v_mul_f16_sdwa v128, v29, v95 dst_sel:DWORD dst_unused:UNUSED_PAD src0_sel:WORD_1 src1_sel:DWORD
	v_add_f16_e32 v53, v53, v55
	v_fma_f16 v52, v29, 0x3b76, -v52
	v_fmac_f16_e32 v79, 0x3836, v35
	v_add_f16_e32 v75, v119, v75
	v_fmamk_f16 v119, v25, 0x3b76, v54
	v_mul_f16_sdwa v129, v32, v126 dst_sel:DWORD dst_unused:UNUSED_PAD src0_sel:WORD_1 src1_sel:DWORD
	v_add_f16_e32 v76, v127, v76
	v_fmamk_f16 v127, v33, 0x3a62, v128
	v_mul_f16_sdwa v130, v26, v83 dst_sel:DWORD dst_unused:UNUSED_PAD src0_sel:WORD_1 src1_sel:DWORD
	v_add_f16_e32 v52, v52, v53
	v_fma_f16 v53, v26, 0xbacd, -v57
	v_add_f16_e32 v50, v79, v50
	v_fmac_f16_e32 v49, 0x3964, v33
	v_add_f16_e32 v75, v119, v75
	v_fmamk_f16 v119, v27, 0x2de8, v129
	v_mul_f16_sdwa v131, v37, v58 dst_sel:DWORD dst_unused:UNUSED_PAD src0_sel:WORD_1 src1_sel:DWORD
	v_add_f16_e32 v76, v127, v76
	v_fmamk_f16 v127, v28, 0x31e1, v130
	v_mul_f16_sdwa v132, v24, v43 dst_sel:DWORD dst_unused:UNUSED_PAD src0_sel:WORD_1 src1_sel:DWORD
	v_add_f16_e32 v52, v53, v52
	v_fma_f16 v53, v24, 0x2de8, -v63
	v_add_f16_e32 v49, v49, v50
	v_fma_f16 v50, v34, 0xbacd, -v88
	v_add_f16_e32 v75, v119, v75
	v_fmamk_f16 v119, v36, 0xbacd, v131
	v_mul_f16_sdwa v133, v35, v126 dst_sel:DWORD dst_unused:UNUSED_PAD src0_sel:WORD_1 src1_sel:DWORD
	v_add_f16_e32 v76, v127, v76
	v_fmamk_f16 v127, v30, 0xb836, v132
	v_mul_f16_sdwa v134, v25, v47 dst_sel:DWORD dst_unused:UNUSED_PAD src0_sel:WORD_1 src1_sel:DWORD
	v_add_f16_e32 v52, v53, v52
	v_fma_f16 v53, v25, 0x39e9, -v78
	v_add_f16_e32 v46, v50, v46
	v_fma_f16 v50, v29, 0x39e9, -v90
	;; [unrolled: 10-line block ×4, first 2 shown]
	v_add_f16_e32 v64, v119, v64
	v_fmamk_f16 v119, v26, 0xbbdd, v137
	v_mul_f16_sdwa v87, v30, v87 dst_sel:DWORD dst_unused:UNUSED_PAD src0_sel:WORD_1 src1_sel:DWORD
	v_add_f16_e32 v76, v127, v76
	v_fmamk_f16 v127, v37, 0xb5c8, v45
	v_mul_f16_sdwa v62, v34, v62 dst_sel:DWORD dst_unused:UNUSED_PAD src0_sel:WORD_1 src1_sel:DWORD
	v_add_f16_e32 v52, v53, v52
	v_add_f16_e32 v46, v50, v46
	v_fma_f16 v50, v25, 0x2de8, -v60
	v_fma_f16 v53, v34, 0xbbdd, -v99
	v_add_f16_e32 v64, v119, v64
	v_fmamk_f16 v119, v24, 0xbacd, v87
	v_mul_f16_sdwa v48, v31, v48 dst_sel:DWORD dst_unused:UNUSED_PAD src0_sel:WORD_1 src1_sel:DWORD
	v_add_f16_e32 v76, v127, v76
	v_fmamk_f16 v127, v35, 0x3964, v62
	v_mul_f16_sdwa v138, v29, v70 dst_sel:DWORD dst_unused:UNUSED_PAD src0_sel:WORD_1 src1_sel:DWORD
	v_add_f16_e32 v46, v50, v46
	v_fma_f16 v50, v27, 0x3b76, -v101
	v_add_f16_e32 v21, v53, v21
	v_fma_f16 v53, v29, 0xb461, -v104
	v_add_f16_e32 v64, v119, v64
	v_fmamk_f16 v119, v25, 0xb461, v48
	v_mul_f16_sdwa v81, v32, v81 dst_sel:DWORD dst_unused:UNUSED_PAD src0_sel:WORD_1 src1_sel:DWORD
	v_add_f16_e32 v77, v127, v77
	v_fmamk_f16 v127, v33, 0x3b29, v138
	v_mul_f16_sdwa v59, v26, v59 dst_sel:DWORD dst_unused:UNUSED_PAD src0_sel:WORD_1 src1_sel:DWORD
	v_add_f16_e32 v46, v50, v46
	v_fma_f16 v50, v36, 0xb8d2, -v109
	v_add_f16_e32 v21, v53, v21
	v_fma_f16 v53, v26, 0x3b76, -v108
	v_add_f16_e32 v64, v119, v64
	v_fmamk_f16 v119, v27, 0x3722, v81
	v_mul_f16_sdwa v105, v37, v105 dst_sel:DWORD dst_unused:UNUSED_PAD src0_sel:WORD_1 src1_sel:DWORD
	v_add_f16_e32 v77, v127, v77
	v_fmamk_f16 v127, v28, 0x3bf7, v59
	v_mul_f16_sdwa v47, v24, v47 dst_sel:DWORD dst_unused:UNUSED_PAD src0_sel:WORD_1 src1_sel:DWORD
	v_add_f16_e32 v46, v50, v46
	v_add_f16_e32 v21, v53, v21
	v_fma_f16 v50, v24, 0x3722, -v110
	v_fma_f16 v53, v34, 0xb8d2, -v98
	v_add_f16_e32 v64, v119, v64
	v_fmamk_f16 v119, v36, 0x3b76, v105
	v_add_f16_e32 v77, v127, v77
	v_fmamk_f16 v127, v30, 0x3bb2, v47
	v_mul_f16_sdwa v95, v25, v95 dst_sel:DWORD dst_unused:UNUSED_PAD src0_sel:WORD_1 src1_sel:DWORD
	v_mul_f16_sdwa v65, v35, v65 dst_sel:DWORD dst_unused:UNUSED_PAD src0_sel:WORD_1 src1_sel:DWORD
	v_add_f16_e32 v21, v50, v21
	v_fma_f16 v50, v25, 0xbacd, -v113
	v_add_f16_e32 v18, v53, v18
	v_fma_f16 v53, v29, 0xbbdd, -v117
	v_add_f16_e32 v64, v119, v64
	v_add_f16_e32 v77, v127, v77
	v_fmamk_f16 v119, v31, 0x3a62, v95
	v_fmamk_f16 v127, v34, 0x39e9, v65
	v_mul_f16_sdwa v91, v33, v91 dst_sel:DWORD dst_unused:UNUSED_PAD src0_sel:WORD_1 src1_sel:DWORD
	v_add_f16_e32 v21, v50, v21
	v_fma_f16 v50, v27, 0xb8d2, -v114
	v_add_f16_e32 v18, v53, v18
	v_fma_f16 v53, v34, 0x2de8, -v133
	v_fma_f16 v34, v34, 0x39e9, -v65
	v_add_f16_e32 v77, v119, v77
	v_add_f16_e32 v71, v127, v71
	v_fmamk_f16 v119, v29, 0x3722, v91
	v_mul_f16_sdwa v126, v28, v126 dst_sel:DWORD dst_unused:UNUSED_PAD src0_sel:WORD_1 src1_sel:DWORD
	v_mov_b32_e32 v127, 0xbbb2
	v_fmac_f16_e32 v44, 0x3bb2, v35
	v_add_f16_e32 v21, v50, v21
	v_fma_f16 v50, v36, 0x39e9, -v120
	v_add_f16_e32 v16, v53, v16
	v_fma_f16 v53, v29, 0xb8d2, -v135
	;; [unrolled: 2-line block ×3, first 2 shown]
	v_add_f16_e32 v71, v119, v71
	v_fmamk_f16 v119, v26, 0x2de8, v126
	v_mul_f16_sdwa v127, v30, v127 dst_sel:DWORD dst_unused:UNUSED_PAD src0_sel:WORD_1 src1_sel:DWORD
	v_mul_f16_sdwa v43, v27, v43 dst_sel:DWORD dst_unused:UNUSED_PAD src0_sel:WORD_1 src1_sel:DWORD
	v_add_f16_e32 v44, v44, v56
	v_fmac_f16_e32 v42, 0xb5c8, v33
	v_add_f16_e32 v21, v50, v21
	v_fma_f16 v50, v26, 0xb461, -v125
	v_add_f16_e32 v16, v53, v16
	v_fma_f16 v53, v26, 0xbbdd, -v137
	;; [unrolled: 2-line block ×3, first 2 shown]
	v_fmac_f16_e32 v97, 0xb1e1, v35
	v_fmac_f16_e32 v112, 0xba62, v35
	;; [unrolled: 1-line block ×3, first 2 shown]
	v_add_f16_e32 v71, v119, v71
	v_fmamk_f16 v119, v24, 0xb461, v127
	v_mul_f16_sdwa v73, v31, v73 dst_sel:DWORD dst_unused:UNUSED_PAD src0_sel:WORD_1 src1_sel:DWORD
	v_fmamk_f16 v56, v32, 0x3836, v43
	v_add_f16_e32 v42, v42, v44
	v_fmac_f16_e32 v51, 0xb836, v28
	v_mul_f16_sdwa v44, v36, v83 dst_sel:DWORD dst_unused:UNUSED_PAD src0_sel:WORD_1 src1_sel:DWORD
	v_add_f16_e32 v18, v50, v18
	v_fma_f16 v50, v24, 0x39e9, -v89
	v_add_f16_e32 v16, v53, v16
	v_fma_f16 v53, v24, 0xbacd, -v87
	;; [unrolled: 2-line block ×3, first 2 shown]
	v_add_f16_e32 v40, v97, v40
	v_fmac_f16_e32 v100, 0x3bb2, v33
	v_add_f16_e32 v20, v112, v20
	v_fmac_f16_e32 v116, 0x31e1, v33
	;; [unrolled: 2-line block ×3, first 2 shown]
	v_fmac_f16_e32 v62, 0xb964, v35
	v_mul_f16_sdwa v58, v32, v58 dst_sel:DWORD dst_unused:UNUSED_PAD src0_sel:WORD_1 src1_sel:DWORD
	v_add_f16_e32 v42, v51, v42
	v_add_f16_e32 v51, v56, v77
	v_fmamk_f16 v56, v37, 0x31e1, v44
	v_add_f16_e32 v15, v24, v15
	v_pk_add_f16 v8, v19, v8
	v_fma_f16 v19, v25, 0xb8d2, -v73
	v_fmac_f16_e32 v82, 0xbb29, v28
	v_add_f16_e32 v40, v100, v40
	v_fmac_f16_e32 v102, 0x35c8, v28
	v_add_f16_e32 v20, v116, v20
	;; [unrolled: 2-line block ×4, first 2 shown]
	v_fmamk_f16 v119, v25, 0xb8d2, v73
	v_add_f16_e32 v13, v62, v13
	v_fmac_f16_e32 v138, 0xbb29, v33
	v_add_f16_e32 v51, v56, v51
	v_mul_f16_sdwa v56, v27, v83 dst_sel:DWORD dst_unused:UNUSED_PAD src0_sel:WORD_1 src1_sel:DWORD
	v_mul_f16_e32 v29, 0x3b29, v37
	v_pk_add_f16 v8, v8, v9
	v_add_f16_e32 v9, v19, v15
	v_fma_f16 v15, v27, 0xbacd, -v58
	v_fmac_f16_e32 v61, 0x3bf7, v30
	v_add_f16_e32 v49, v82, v49
	v_fmac_f16_e32 v86, 0xb1e1, v30
	v_add_f16_e32 v40, v102, v40
	;; [unrolled: 2-line block ×5, first 2 shown]
	v_fmamk_f16 v119, v27, 0xbacd, v58
	v_mul_f16_sdwa v66, v37, v66 dst_sel:DWORD dst_unused:UNUSED_PAD src0_sel:WORD_1 src1_sel:DWORD
	v_add_f16_e32 v13, v138, v13
	v_fmac_f16_e32 v59, 0xbbf7, v28
	v_fmamk_f16 v55, v32, 0x31e1, v56
	v_mul_f16_sdwa v70, v36, v70 dst_sel:DWORD dst_unused:UNUSED_PAD src0_sel:WORD_1 src1_sel:DWORD
	v_alignbit_b32 v26, v39, v39, 16
	v_pk_mul_f16 v28, 0xbbb23bf7, v37
	v_pk_add_f16 v2, v8, v2
	v_add_f16_e32 v8, v15, v9
	v_bfi_b32 v9, 0xffff, v29, v14
	v_add_f16_e32 v42, v61, v42
	v_fmac_f16_e32 v72, 0xb964, v31
	v_add_f16_e32 v49, v86, v49
	v_fmac_f16_e32 v84, 0x3bf7, v31
	;; [unrolled: 2-line block ×4, first 2 shown]
	v_add_f16_e32 v18, v50, v18
	v_fma_f16 v50, v25, 0x3b76, -v54
	v_add_f16_e32 v17, v132, v17
	v_fmac_f16_e32 v134, 0x3bb2, v31
	v_add_f16_e32 v16, v53, v16
	v_fma_f16 v35, v25, 0xb461, -v48
	v_add_f16_e32 v71, v119, v71
	v_fmamk_f16 v77, v36, 0xbbdd, v66
	v_add_f16_e32 v13, v59, v13
	v_fmac_f16_e32 v47, 0xbbb2, v30
	v_pk_add_f16 v2, v2, v3
	v_bfi_b32 v3, 0xffff, v55, v26
	v_bfi_b32 v10, 0xffff, v10, v28
	v_pk_add_f16 v9, v70, v9 neg_lo:[0,1] neg_hi:[0,1]
	v_pk_add_f16 v14, v38, v14
	v_add_f16_e32 v42, v72, v42
	v_fmac_f16_e32 v56, 0xb1e1, v32
	v_add_f16_e32 v49, v84, v49
	v_fmac_f16_e32 v93, 0xb5c8, v32
	;; [unrolled: 2-line block ×4, first 2 shown]
	v_add_f16_e32 v18, v50, v18
	v_fma_f16 v50, v27, 0x2de8, -v129
	v_add_f16_e32 v17, v134, v17
	v_fmac_f16_e32 v136, 0x3b29, v32
	v_add_f16_e32 v16, v35, v16
	v_fma_f16 v33, v27, 0x3722, -v81
	v_add_f16_e32 v61, v77, v71
	v_add_f16_e32 v13, v47, v13
	v_fmac_f16_e32 v95, 0xba62, v31
	v_pk_add_f16 v3, v3, v10
	v_bfi_b32 v9, 0xffff, v9, v14
	v_add_f16_e32 v42, v56, v42
	v_fmamk_f16 v56, v37, 0x3b29, v70
	v_add_f16_e32 v49, v93, v49
	v_fmac_f16_e32 v92, 0xba62, v37
	v_add_f16_e32 v40, v106, v40
	v_fmac_f16_e32 v118, 0x3964, v37
	;; [unrolled: 2-line block ×3, first 2 shown]
	v_add_f16_e32 v18, v50, v18
	v_fma_f16 v50, v36, 0xbacd, -v131
	v_add_f16_e32 v17, v136, v17
	v_fmac_f16_e32 v45, 0x35c8, v37
	v_add_f16_e32 v16, v33, v16
	v_fma_f16 v24, v36, 0x3b76, -v105
	v_fma_f16 v15, v36, 0xbbdd, -v66
	v_add_f16_e32 v13, v95, v13
	v_fmac_f16_e32 v43, 0xb836, v32
	v_lshl_add_u32 v19, v4, 6, v22
	v_pk_add_f16 v2, v2, v23
	v_pack_b32_f16 v23, v61, v51
	v_pack_b32_f16 v10, v75, v68
	;; [unrolled: 1-line block ×3, first 2 shown]
	v_pk_add_f16 v3, v9, v3
	v_add_f16_e32 v42, v56, v42
	v_add_f16_e32 v49, v92, v49
	;; [unrolled: 1-line block ×9, first 2 shown]
	v_fmac_f16_e32 v44, 0xb1e1, v37
	ds_write2_b32 v19, v2, v23 offset1:1
	ds_write2_b32 v19, v14, v10 offset0:2 offset1:3
	v_pack_b32_f16 v14, v67, v41
	v_pack_b32_f16 v15, v69, v74
	v_alignbit_b32 v12, v12, v3, 16
	v_pack_b32_f16 v23, v11, v3
	v_pack_b32_f16 v3, v42, v46
	v_perm_b32 v2, v52, v5, 0x5040100
	v_pack_b32_f16 v11, v17, v8
	v_pack_b32_f16 v10, v20, v16
	;; [unrolled: 1-line block ×4, first 2 shown]
	v_add_f16_e32 v13, v44, v13
	ds_write2_b32 v19, v15, v14 offset0:4 offset1:5
	ds_write2_b32 v19, v23, v12 offset0:6 offset1:7
	ds_write_b16_d16_hi v19, v5 offset:32
	ds_write_b128 v19, v[0:3] offset:34
	ds_write_b128 v19, v[8:11] offset:50
	ds_write_b16 v19, v13 offset:66
.LBB0_13:
	s_or_b32 exec_lo, exec_lo, s1
	v_and_b32_e32 v2, 0xff, v4
	v_mov_b32_e32 v3, 7
	s_waitcnt lgkmcnt(0)
	s_barrier
	buffer_gl0_inv
	v_mul_lo_u16 v2, 0xf1, v2
	v_add_nc_u32_e32 v9, 0x1100, v22
	v_add_nc_u32_e32 v19, 0x500, v22
	;; [unrolled: 1-line block ×3, first 2 shown]
	v_mov_b32_e32 v25, 0x220
	v_lshrrev_b16 v8, 12, v2
	v_mov_b32_e32 v26, 2
	v_cmp_gt_u32_e64 s0, 0x88, v4
	v_mul_lo_u16 v2, v8, 17
	v_mul_u32_u24_sdwa v8, v8, v25 dst_sel:DWORD dst_unused:UNUSED_PAD src0_sel:WORD_0 src1_sel:DWORD
	v_sub_nc_u16 v21, v4, v2
	v_mul_u32_u24_sdwa v2, v21, v3 dst_sel:DWORD dst_unused:UNUSED_PAD src0_sel:BYTE_0 src1_sel:DWORD
	v_lshlrev_b32_sdwa v21, v26, v21 dst_sel:DWORD dst_unused:UNUSED_PAD src0_sel:DWORD src1_sel:BYTE_0
	v_lshlrev_b32_e32 v2, 2, v2
	v_add3_u32 v8, 0, v8, v21
	s_clause 0x1
	global_load_dwordx4 v[10:13], v2, s[8:9]
	global_load_dwordx3 v[14:16], v2, s[8:9] offset:16
	ds_read2_b32 v[2:3], v22 offset1:187
	ds_read2_b32 v[17:18], v9 offset0:34 offset1:221
	ds_read2_b32 v[19:20], v19 offset0:54 offset1:241
	;; [unrolled: 1-line block ×3, first 2 shown]
	v_lshrrev_b32_e32 v9, 16, v0
	s_waitcnt vmcnt(0) lgkmcnt(0)
	s_barrier
	buffer_gl0_inv
	v_lshrrev_b32_e32 v28, 16, v18
	v_lshrrev_b32_e32 v25, 16, v3
	;; [unrolled: 1-line block ×8, first 2 shown]
	v_mul_f16_sdwa v21, v10, v25 dst_sel:DWORD dst_unused:UNUSED_PAD src0_sel:WORD_1 src1_sel:DWORD
	v_mul_f16_sdwa v33, v10, v3 dst_sel:DWORD dst_unused:UNUSED_PAD src0_sel:WORD_1 src1_sel:DWORD
	;; [unrolled: 1-line block ×12, first 2 shown]
	v_mul_f16_sdwa v44, v28, v16 dst_sel:DWORD dst_unused:UNUSED_PAD src0_sel:DWORD src1_sel:WORD_1
	v_mul_f16_sdwa v45, v18, v16 dst_sel:DWORD dst_unused:UNUSED_PAD src0_sel:DWORD src1_sel:WORD_1
	v_fmac_f16_e32 v21, v10, v3
	v_fma_f16 v3, v10, v25, -v33
	v_fmac_f16_e32 v34, v11, v19
	v_fma_f16 v10, v11, v29, -v35
	;; [unrolled: 2-line block ×7, first 2 shown]
	v_sub_f16_e32 v16, v2, v38
	v_sub_f16_e32 v12, v27, v12
	;; [unrolled: 1-line block ×8, first 2 shown]
	v_fma_f16 v2, v2, 2.0, -v16
	v_fma_f16 v20, v27, 2.0, -v12
	;; [unrolled: 1-line block ×8, first 2 shown]
	v_add_f16_e32 v25, v16, v14
	v_sub_f16_e32 v26, v12, v17
	v_add_f16_e32 v14, v18, v15
	v_sub_f16_e32 v15, v13, v19
	v_sub_f16_e32 v23, v2, v23
	;; [unrolled: 1-line block ×3, first 2 shown]
	v_fma_f16 v28, v16, 2.0, -v25
	v_fma_f16 v29, v12, 2.0, -v26
	v_sub_f16_e32 v12, v21, v24
	v_sub_f16_e32 v10, v3, v11
	v_fma_f16 v16, v18, 2.0, -v14
	v_fma_f16 v24, v13, 2.0, -v15
	v_fmamk_f16 v11, v14, 0x39a8, v25
	v_fmamk_f16 v18, v15, 0x39a8, v26
	v_fma_f16 v2, v2, 2.0, -v23
	v_fma_f16 v30, v20, 2.0, -v27
	v_fma_f16 v20, v21, 2.0, -v12
	v_fma_f16 v3, v3, 2.0, -v10
	v_fmamk_f16 v13, v16, 0xb9a8, v28
	v_fmamk_f16 v17, v24, 0xb9a8, v29
	v_add_f16_e32 v10, v23, v10
	v_sub_f16_e32 v19, v27, v12
	v_fmac_f16_e32 v11, 0x39a8, v15
	v_fmac_f16_e32 v18, 0xb9a8, v14
	v_sub_f16_e32 v12, v2, v20
	v_sub_f16_e32 v20, v30, v3
	v_fmac_f16_e32 v13, 0x39a8, v24
	v_fmac_f16_e32 v17, 0xb9a8, v16
	v_fma_f16 v14, v23, 2.0, -v10
	v_fma_f16 v21, v27, 2.0, -v19
	;; [unrolled: 1-line block ×8, first 2 shown]
	v_pack_b32_f16 v25, v10, v19
	v_pack_b32_f16 v26, v11, v18
	v_pack_b32_f16 v27, v14, v21
	v_pack_b32_f16 v28, v15, v23
	v_pack_b32_f16 v29, v12, v20
	v_pack_b32_f16 v30, v13, v17
	v_pack_b32_f16 v31, v2, v16
	v_pack_b32_f16 v32, v3, v24
	ds_write2_b32 v8, v25, v26 offset0:102 offset1:119
	ds_write2_b32 v8, v27, v28 offset0:34 offset1:51
	;; [unrolled: 1-line block ×3, first 2 shown]
	ds_write2_b32 v8, v31, v32 offset1:17
	s_waitcnt lgkmcnt(0)
	s_barrier
	buffer_gl0_inv
	s_and_saveexec_b32 s1, s0
	s_cbranch_execz .LBB0_15
; %bb.14:
	v_add_nc_u32_e32 v0, 0x1000, v22
	v_add_nc_u32_e32 v1, 0x400, v22
	;; [unrolled: 1-line block ×4, first 2 shown]
	ds_read2_b32 v[2:3], v22 offset1:136
	ds_read2_b32 v[8:9], v0 offset0:64 offset1:200
	ds_read2_b32 v[14:15], v1 offset0:16 offset1:152
	;; [unrolled: 1-line block ×4, first 2 shown]
	ds_read_b32 v1, v22 offset:5440
	s_waitcnt lgkmcnt(4)
	v_lshrrev_b32_e32 v0, 16, v8
	s_waitcnt lgkmcnt(3)
	v_lshrrev_b32_e32 v21, 16, v14
	v_lshrrev_b32_e32 v23, 16, v15
	;; [unrolled: 1-line block ×4, first 2 shown]
	s_waitcnt lgkmcnt(2)
	v_lshrrev_b32_e32 v20, 16, v12
	v_lshrrev_b32_e32 v17, 16, v13
	s_waitcnt lgkmcnt(1)
	v_lshrrev_b32_e32 v19, 16, v10
	v_lshrrev_b32_e32 v18, 16, v11
	s_waitcnt lgkmcnt(0)
	v_alignbit_b32 v5, v8, v1, 16
	v_alignbit_b32 v1, v1, v9, 16
.LBB0_15:
	s_or_b32 exec_lo, exec_lo, s1
	s_barrier
	buffer_gl0_inv
	s_and_saveexec_b32 s1, s0
	s_cbranch_execz .LBB0_17
; %bb.16:
	v_add_nc_u32_e32 v8, 0xffffff78, v4
	v_mov_b32_e32 v26, 0
	v_lshrrev_b32_e32 v35, 16, v5
	v_add_nc_u32_e32 v36, 0x400, v22
	v_add_nc_u32_e32 v37, 0x800, v22
	v_cndmask_b32_e64 v8, v8, v4, s0
	v_add_nc_u32_e32 v38, 0xc00, v22
	v_add_nc_u32_e32 v39, 0x1000, v22
	v_mul_i32_i24_e32 v25, 10, v8
	v_lshrrev_b32_e32 v8, 16, v1
	v_lshlrev_b64 v[25:26], 2, v[25:26]
	v_add_co_u32 v29, s0, s8, v25
	v_add_co_ci_u32_e64 v30, s0, s9, v26, s0
	s_clause 0x2
	global_load_dwordx4 v[25:28], v[29:30], off offset:476
	global_load_dwordx2 v[33:34], v[29:30], off offset:508
	global_load_dwordx4 v[29:32], v[29:30], off offset:492
	s_waitcnt vmcnt(2)
	v_mul_f16_sdwa v40, v24, v25 dst_sel:DWORD dst_unused:UNUSED_PAD src0_sel:DWORD src1_sel:WORD_1
	s_waitcnt vmcnt(1)
	v_mul_f16_sdwa v41, v5, v34 dst_sel:DWORD dst_unused:UNUSED_PAD src0_sel:DWORD src1_sel:WORD_1
	v_mul_f16_sdwa v42, v8, v34 dst_sel:DWORD dst_unused:UNUSED_PAD src0_sel:DWORD src1_sel:WORD_1
	;; [unrolled: 1-line block ×8, first 2 shown]
	s_waitcnt vmcnt(0)
	v_mul_f16_sdwa v49, v0, v32 dst_sel:DWORD dst_unused:UNUSED_PAD src0_sel:DWORD src1_sel:WORD_1
	v_mul_f16_sdwa v50, v35, v32 dst_sel:DWORD dst_unused:UNUSED_PAD src0_sel:DWORD src1_sel:WORD_1
	v_mul_f16_sdwa v51, v15, v27 dst_sel:DWORD dst_unused:UNUSED_PAD src0_sel:DWORD src1_sel:WORD_1
	v_mul_f16_sdwa v52, v20, v28 dst_sel:DWORD dst_unused:UNUSED_PAD src0_sel:DWORD src1_sel:WORD_1
	v_mul_f16_sdwa v53, v18, v31 dst_sel:DWORD dst_unused:UNUSED_PAD src0_sel:DWORD src1_sel:WORD_1
	v_mul_f16_sdwa v54, v11, v31 dst_sel:DWORD dst_unused:UNUSED_PAD src0_sel:DWORD src1_sel:WORD_1
	v_mul_f16_sdwa v55, v12, v28 dst_sel:DWORD dst_unused:UNUSED_PAD src0_sel:DWORD src1_sel:WORD_1
	v_mul_f16_sdwa v56, v17, v29 dst_sel:DWORD dst_unused:UNUSED_PAD src0_sel:DWORD src1_sel:WORD_1
	v_mul_f16_sdwa v57, v19, v30 dst_sel:DWORD dst_unused:UNUSED_PAD src0_sel:DWORD src1_sel:WORD_1
	v_mul_f16_sdwa v58, v10, v30 dst_sel:DWORD dst_unused:UNUSED_PAD src0_sel:DWORD src1_sel:WORD_1
	v_mul_f16_sdwa v59, v13, v29 dst_sel:DWORD dst_unused:UNUSED_PAD src0_sel:DWORD src1_sel:WORD_1
	v_fmac_f16_e32 v40, v3, v25
	v_fmac_f16_e32 v41, v8, v34
	v_fma_f16 v3, v5, v34, -v42
	v_fma_f16 v5, v24, v25, -v43
	v_fmac_f16_e32 v44, v14, v26
	v_fmac_f16_e32 v45, v9, v33
	v_fma_f16 v1, v1, v33, -v46
	v_fma_f16 v8, v21, v26, -v47
	;; [unrolled: 4-line block ×5, first 2 shown]
	v_sub_f16_e32 v14, v40, v41
	v_add_f16_e32 v15, v5, v3
	v_add_f16_e32 v26, v40, v41
	v_sub_f16_e32 v27, v5, v3
	v_add_f16_e32 v40, v2, v40
	v_add_f16_e32 v5, v16, v5
	v_sub_f16_e32 v17, v44, v45
	v_add_f16_e32 v18, v8, v1
	v_sub_f16_e32 v19, v48, v49
	;; [unrolled: 2-line block ×5, first 2 shown]
	v_sub_f16_e32 v31, v9, v0
	v_sub_f16_e32 v33, v12, v11
	;; [unrolled: 1-line block ×3, first 2 shown]
	v_mul_f16_e32 v42, 0xbbeb, v14
	v_mul_f16_e32 v51, 0xbbeb, v27
	;; [unrolled: 1-line block ×7, first 2 shown]
	v_add_f16_e32 v40, v40, v44
	v_add_f16_e32 v5, v5, v8
	;; [unrolled: 1-line block ×6, first 2 shown]
	v_mul_f16_e32 v43, 0x3482, v17
	v_mul_f16_e32 v46, 0x3b47, v19
	;; [unrolled: 1-line block ×43, first 2 shown]
	v_fmamk_f16 v8, v15, 0xb08e, v42
	v_fma_f16 v98, v26, 0xb08e, -v51
	v_fmamk_f16 v103, v15, 0xb93d, v60
	v_fma_f16 v108, v26, 0xb93d, -v65
	v_fmamk_f16 v113, v15, 0xbbad, v70
	v_fma_f16 v118, v26, 0xbbad, -v75
	v_fma_f16 v70, v15, 0xbbad, -v70
	v_fmac_f16_e32 v75, 0xbbad, v26
	v_fma_f16 v60, v15, 0xb93d, -v60
	v_fmac_f16_e32 v65, 0xb93d, v26
	;; [unrolled: 2-line block ×3, first 2 shown]
	v_fmamk_f16 v123, v26, 0x36a6, v85
	v_add_f16_e32 v40, v40, v48
	v_add_f16_e32 v5, v5, v9
	v_fmamk_f16 v44, v18, 0xbbad, v43
	v_fmamk_f16 v95, v20, 0x36a6, v46
	v_fmamk_f16 v96, v23, 0x3abb, v47
	v_fmamk_f16 v97, v25, 0xb93d, v50
	v_fma_f16 v99, v28, 0xbbad, -v54
	v_fma_f16 v100, v30, 0x36a6, -v55
	v_fma_f16 v101, v32, 0x3abb, -v58
	v_fma_f16 v102, v34, 0xb93d, -v59
	v_fmamk_f16 v104, v18, 0xb08e, v61
	v_fmamk_f16 v105, v20, 0x3abb, v62
	v_fmamk_f16 v106, v23, 0xbbad, v63
	v_fmamk_f16 v107, v25, 0x36a6, v64
	v_fma_f16 v109, v28, 0xb08e, -v66
	v_fma_f16 v110, v30, 0x3abb, -v67
	v_fma_f16 v111, v32, 0xbbad, -v68
	v_fma_f16 v112, v34, 0x36a6, -v69
	;; [unrolled: 8-line block ×3, first 2 shown]
	v_fma_f16 v71, v18, 0x3abb, -v71
	v_fma_f16 v72, v20, 0xb93d, -v72
	v_fma_f16 v73, v23, 0x36a6, -v73
	v_fma_f16 v74, v25, 0xb08e, -v74
	v_fmac_f16_e32 v76, 0x3abb, v28
	v_fmac_f16_e32 v77, 0xb93d, v30
	v_fmac_f16_e32 v78, 0x36a6, v32
	v_fmac_f16_e32 v79, 0xb08e, v34
	v_fma_f16 v61, v18, 0xb08e, -v61
	v_fma_f16 v62, v20, 0x3abb, -v62
	v_fma_f16 v63, v23, 0xbbad, -v63
	v_fma_f16 v64, v25, 0x36a6, -v64
	v_fmac_f16_e32 v66, 0xb08e, v28
	v_fmac_f16_e32 v67, 0x3abb, v30
	v_fmac_f16_e32 v68, 0xbbad, v32
	v_fmac_f16_e32 v69, 0x36a6, v34
	;; [unrolled: 8-line block ×3, first 2 shown]
	v_fmamk_f16 v42, v14, 0x3b47, v80
	v_fmamk_f16 v43, v17, 0x3a0c, v81
	;; [unrolled: 1-line block ×19, first 2 shown]
	v_fmac_f16_e32 v80, 0xbb47, v14
	v_fmac_f16_e32 v81, 0xba0c, v17
	;; [unrolled: 1-line block ×5, first 2 shown]
	v_fma_f16 v9, v26, 0x36a6, -v85
	v_fma_f16 v48, v28, 0xb93d, -v86
	;; [unrolled: 1-line block ×5, first 2 shown]
	v_fmac_f16_e32 v90, 0xb853, v14
	v_fmac_f16_e32 v91, 0xbb47, v17
	;; [unrolled: 1-line block ×5, first 2 shown]
	v_fma_f16 v14, v26, 0x3abb, -v27
	v_fma_f16 v17, v28, 0x36a6, -v29
	;; [unrolled: 1-line block ×5, first 2 shown]
	v_add_f16_e32 v26, v2, v98
	v_add_f16_e32 v27, v16, v103
	;; [unrolled: 1-line block ×114, first 2 shown]
	v_pack_b32_f16 v20, v23, v20
	v_pack_b32_f16 v15, v18, v15
	;; [unrolled: 1-line block ×11, first 2 shown]
	ds_write2_b32 v36, v20, v15 offset0:16 offset1:152
	ds_write2_b32 v37, v18, v19 offset0:32 offset1:168
	;; [unrolled: 1-line block ×4, first 2 shown]
	ds_write2_b32 v22, v0, v1 offset1:136
	ds_write_b32 v22, v2 offset:5440
.LBB0_17:
	s_or_b32 exec_lo, exec_lo, s1
	s_waitcnt lgkmcnt(0)
	s_barrier
	buffer_gl0_inv
	ds_read_b32 v10, v22
	v_lshlrev_b32_e32 v0, 2, v4
	s_add_u32 s1, s8, 0x171c
	s_addc_u32 s4, s9, 0
	s_mov_b32 s5, exec_lo
                                        ; implicit-def: $vgpr9
                                        ; implicit-def: $vgpr8
                                        ; implicit-def: $vgpr3
	v_sub_nc_u32_e32 v2, 0, v0
                                        ; implicit-def: $vgpr0_vgpr1
	v_cmpx_ne_u32_e32 0, v4
	s_xor_b32 s5, exec_lo, s5
	s_cbranch_execz .LBB0_19
; %bb.18:
	v_mov_b32_e32 v5, 0
	v_lshlrev_b64 v[0:1], 2, v[4:5]
	v_add_co_u32 v0, s0, s1, v0
	v_add_co_ci_u32_e64 v1, s0, s4, v1, s0
	global_load_dword v0, v[0:1], off
	ds_read_b32 v1, v2 offset:5984
	s_waitcnt lgkmcnt(0)
	v_pk_add_f16 v3, v10, v1 neg_lo:[0,1] neg_hi:[0,1]
	v_pk_add_f16 v1, v1, v10
                                        ; implicit-def: $vgpr10
	v_bfi_b32 v8, 0xffff, v3, v1
	v_bfi_b32 v1, 0xffff, v1, v3
	v_pk_mul_f16 v8, v8, 0.5 op_sel_hi:[1,0]
	v_pk_mul_f16 v9, v1, 0.5 op_sel_hi:[1,0]
	s_waitcnt vmcnt(0)
	v_pk_mul_f16 v3, v0, v8 op_sel:[1,0]
	v_pk_mul_f16 v0, v0, v8 op_sel_hi:[0,1]
	v_pk_fma_f16 v1, v1, 0.5, v3 op_sel_hi:[1,0,1]
	v_sub_f16_e32 v8, v9, v3
	v_sub_f16_sdwa v3, v3, v9 dst_sel:DWORD dst_unused:UNUSED_PAD src0_sel:WORD_1 src1_sel:WORD_1
	v_pk_add_f16 v9, v1, v0 op_sel:[0,1] op_sel_hi:[1,0]
	v_pk_add_f16 v1, v1, v0 op_sel:[0,1] op_sel_hi:[1,0] neg_lo:[0,1] neg_hi:[0,1]
	v_sub_f16_sdwa v8, v8, v0 dst_sel:DWORD dst_unused:UNUSED_PAD src0_sel:DWORD src1_sel:WORD_1
	v_sub_f16_e32 v3, v3, v0
	v_bfi_b32 v9, 0xffff, v9, v1
	v_mov_b32_e32 v0, v4
	v_mov_b32_e32 v1, v5
.LBB0_19:
	s_andn2_saveexec_b32 s0, s5
	s_cbranch_execz .LBB0_21
; %bb.20:
	v_mov_b32_e32 v3, 0
	s_waitcnt lgkmcnt(0)
	v_alignbit_b32 v1, s0, v10, 16
	v_sub_f16_sdwa v8, v10, v10 dst_sel:DWORD dst_unused:UNUSED_PAD src0_sel:DWORD src1_sel:WORD_1
	ds_read_u16 v0, v3 offset:2994
	v_pk_add_f16 v5, v1, v10
	v_pack_b32_f16 v9, v5, 0
	s_waitcnt lgkmcnt(0)
	v_xor_b32_e32 v10, 0x8000, v0
	v_mov_b32_e32 v0, 0
	v_mov_b32_e32 v1, 0
	ds_write_b16 v3, v10 offset:2994
.LBB0_21:
	s_or_b32 exec_lo, exec_lo, s0
	v_lshlrev_b64 v[0:1], 2, v[0:1]
	s_waitcnt lgkmcnt(0)
	v_add_co_u32 v10, s0, s1, v0
	v_add_co_ci_u32_e64 v11, s0, s4, v1, s0
	s_clause 0x1
	global_load_dword v5, v[10:11], off offset:748
	global_load_dword v12, v[10:11], off offset:1496
	v_add_co_u32 v10, s0, 0x800, v10
	v_add_co_ci_u32_e64 v11, s0, 0, v11, s0
	global_load_dword v10, v[10:11], off offset:196
	ds_write_b16 v2, v3 offset:5986
	ds_write_b32 v22, v9
	ds_write_b16 v2, v8 offset:5984
	ds_read_b32 v3, v22 offset:748
	ds_read_b32 v8, v2 offset:5236
	s_waitcnt lgkmcnt(0)
	v_pk_add_f16 v9, v3, v8 neg_lo:[0,1] neg_hi:[0,1]
	v_pk_add_f16 v3, v3, v8
	v_bfi_b32 v8, 0xffff, v9, v3
	v_bfi_b32 v3, 0xffff, v3, v9
	v_pk_mul_f16 v8, v8, 0.5 op_sel_hi:[1,0]
	v_pk_mul_f16 v11, v3, 0.5 op_sel_hi:[1,0]
	s_waitcnt vmcnt(2)
	v_pk_mul_f16 v9, v5, v8 op_sel:[1,0]
	v_pk_mul_f16 v5, v5, v8 op_sel_hi:[0,1]
	v_pk_fma_f16 v3, v3, 0.5, v9 op_sel_hi:[1,0,1]
	v_sub_f16_sdwa v8, v9, v11 dst_sel:DWORD dst_unused:UNUSED_PAD src0_sel:WORD_1 src1_sel:WORD_1
	v_sub_f16_e32 v9, v11, v9
	v_pk_add_f16 v13, v3, v5 op_sel:[0,1] op_sel_hi:[1,0]
	v_pk_add_f16 v3, v3, v5 op_sel:[0,1] op_sel_hi:[1,0] neg_lo:[0,1] neg_hi:[0,1]
	v_sub_f16_e32 v8, v8, v5
	v_sub_f16_sdwa v5, v9, v5 dst_sel:DWORD dst_unused:UNUSED_PAD src0_sel:DWORD src1_sel:WORD_1
	v_bfi_b32 v3, 0xffff, v13, v3
	ds_write_b16 v2, v8 offset:5238
	ds_write_b32 v22, v3 offset:748
	ds_write_b16 v2, v5 offset:5236
	ds_read_b32 v3, v22 offset:1496
	ds_read_b32 v5, v2 offset:4488
	s_waitcnt lgkmcnt(0)
	v_pk_add_f16 v8, v3, v5 neg_lo:[0,1] neg_hi:[0,1]
	v_pk_add_f16 v3, v3, v5
	v_bfi_b32 v5, 0xffff, v8, v3
	v_bfi_b32 v3, 0xffff, v3, v8
	v_pk_mul_f16 v5, v5, 0.5 op_sel_hi:[1,0]
	v_pk_mul_f16 v3, v3, 0.5 op_sel_hi:[1,0]
	s_waitcnt vmcnt(1)
	v_pk_mul_f16 v9, v12, v5 op_sel_hi:[0,1]
	v_pk_fma_f16 v8, v12, v5, v3 op_sel:[1,0,0]
	v_pk_fma_f16 v11, v12, v5, v3 op_sel:[1,0,0] neg_lo:[1,0,0] neg_hi:[1,0,0]
	v_pk_fma_f16 v3, v12, v5, v3 op_sel:[1,0,0] neg_lo:[0,0,1] neg_hi:[0,0,1]
	v_pk_add_f16 v5, v8, v9 op_sel:[0,1] op_sel_hi:[1,0]
	v_pk_add_f16 v8, v8, v9 op_sel:[0,1] op_sel_hi:[1,0] neg_lo:[0,1] neg_hi:[0,1]
	v_pk_add_f16 v11, v11, v9 op_sel:[0,1] op_sel_hi:[1,0] neg_lo:[0,1] neg_hi:[0,1]
	;; [unrolled: 1-line block ×3, first 2 shown]
	v_bfi_b32 v5, 0xffff, v5, v8
	v_bfi_b32 v3, 0xffff, v11, v3
	ds_write_b32 v22, v5 offset:1496
	ds_write_b32 v2, v3 offset:4488
	ds_read_b32 v3, v22 offset:2244
	ds_read_b32 v5, v2 offset:3740
	s_waitcnt lgkmcnt(0)
	v_pk_add_f16 v8, v3, v5 neg_lo:[0,1] neg_hi:[0,1]
	v_pk_add_f16 v3, v3, v5
	v_bfi_b32 v5, 0xffff, v8, v3
	v_bfi_b32 v3, 0xffff, v3, v8
	v_pk_mul_f16 v5, v5, 0.5 op_sel_hi:[1,0]
	v_pk_mul_f16 v3, v3, 0.5 op_sel_hi:[1,0]
	s_waitcnt vmcnt(0)
	v_pk_mul_f16 v9, v10, v5 op_sel_hi:[0,1]
	v_pk_fma_f16 v8, v10, v5, v3 op_sel:[1,0,0]
	v_pk_fma_f16 v11, v10, v5, v3 op_sel:[1,0,0] neg_lo:[1,0,0] neg_hi:[1,0,0]
	v_pk_fma_f16 v3, v10, v5, v3 op_sel:[1,0,0] neg_lo:[0,0,1] neg_hi:[0,0,1]
	v_pk_add_f16 v5, v8, v9 op_sel:[0,1] op_sel_hi:[1,0]
	v_pk_add_f16 v8, v8, v9 op_sel:[0,1] op_sel_hi:[1,0] neg_lo:[0,1] neg_hi:[0,1]
	v_pk_add_f16 v10, v11, v9 op_sel:[0,1] op_sel_hi:[1,0] neg_lo:[0,1] neg_hi:[0,1]
	;; [unrolled: 1-line block ×3, first 2 shown]
	v_bfi_b32 v5, 0xffff, v5, v8
	v_bfi_b32 v3, 0xffff, v10, v3
	ds_write_b32 v22, v5 offset:2244
	ds_write_b32 v2, v3 offset:3740
	s_waitcnt lgkmcnt(0)
	s_barrier
	buffer_gl0_inv
	s_and_saveexec_b32 s0, vcc_lo
	s_cbranch_execz .LBB0_24
; %bb.22:
	v_add_nc_u32_e32 v2, 0x500, v22
	v_add_nc_u32_e32 v5, 0xb00, v22
	;; [unrolled: 1-line block ×3, first 2 shown]
	ds_read2_b32 v[8:9], v22 offset1:187
	ds_read2_b32 v[10:11], v2 offset0:54 offset1:241
	v_add_co_u32 v2, vcc_lo, s2, v6
	ds_read2_b32 v[5:6], v5 offset0:44 offset1:231
	ds_read2_b32 v[12:13], v12 offset0:34 offset1:221
	v_add_co_ci_u32_e32 v3, vcc_lo, s3, v7, vcc_lo
	v_add_co_u32 v0, vcc_lo, v2, v0
	v_add_co_ci_u32_e32 v1, vcc_lo, v3, v1, vcc_lo
	v_add_co_u32 v14, vcc_lo, 0x800, v0
	;; [unrolled: 2-line block ×3, first 2 shown]
	v_add_co_ci_u32_e32 v17, vcc_lo, 0, v1, vcc_lo
	v_cmp_eq_u32_e32 vcc_lo, 0xba, v4
	s_waitcnt lgkmcnt(3)
	global_store_dword v[0:1], v8, off
	global_store_dword v[0:1], v9, off offset:748
	s_waitcnt lgkmcnt(2)
	global_store_dword v[0:1], v10, off offset:1496
	global_store_dword v[14:15], v11, off offset:196
	s_waitcnt lgkmcnt(1)
	global_store_dword v[14:15], v5, off offset:944
	;; [unrolled: 3-line block ×3, first 2 shown]
	global_store_dword v[16:17], v13, off offset:1140
	s_and_b32 exec_lo, exec_lo, vcc_lo
	s_cbranch_execz .LBB0_24
; %bb.23:
	v_mov_b32_e32 v0, 0
	ds_read_b32 v4, v0 offset:5984
	v_add_co_u32 v0, vcc_lo, 0x1000, v2
	v_add_co_ci_u32_e32 v1, vcc_lo, 0, v3, vcc_lo
	s_waitcnt lgkmcnt(0)
	global_store_dword v[0:1], v4, off offset:1888
.LBB0_24:
	s_endpgm
	.section	.rodata,"a",@progbits
	.p2align	6, 0x0
	.amdhsa_kernel fft_rtc_back_len1496_factors_17_8_11_wgs_187_tpt_187_halfLds_half_ip_CI_unitstride_sbrr_R2C_dirReg
		.amdhsa_group_segment_fixed_size 0
		.amdhsa_private_segment_fixed_size 0
		.amdhsa_kernarg_size 88
		.amdhsa_user_sgpr_count 6
		.amdhsa_user_sgpr_private_segment_buffer 1
		.amdhsa_user_sgpr_dispatch_ptr 0
		.amdhsa_user_sgpr_queue_ptr 0
		.amdhsa_user_sgpr_kernarg_segment_ptr 1
		.amdhsa_user_sgpr_dispatch_id 0
		.amdhsa_user_sgpr_flat_scratch_init 0
		.amdhsa_user_sgpr_private_segment_size 0
		.amdhsa_wavefront_size32 1
		.amdhsa_uses_dynamic_stack 0
		.amdhsa_system_sgpr_private_segment_wavefront_offset 0
		.amdhsa_system_sgpr_workgroup_id_x 1
		.amdhsa_system_sgpr_workgroup_id_y 0
		.amdhsa_system_sgpr_workgroup_id_z 0
		.amdhsa_system_sgpr_workgroup_info 0
		.amdhsa_system_vgpr_workitem_id 0
		.amdhsa_next_free_vgpr 139
		.amdhsa_next_free_sgpr 21
		.amdhsa_reserve_vcc 1
		.amdhsa_reserve_flat_scratch 0
		.amdhsa_float_round_mode_32 0
		.amdhsa_float_round_mode_16_64 0
		.amdhsa_float_denorm_mode_32 3
		.amdhsa_float_denorm_mode_16_64 3
		.amdhsa_dx10_clamp 1
		.amdhsa_ieee_mode 1
		.amdhsa_fp16_overflow 0
		.amdhsa_workgroup_processor_mode 1
		.amdhsa_memory_ordered 1
		.amdhsa_forward_progress 0
		.amdhsa_shared_vgpr_count 0
		.amdhsa_exception_fp_ieee_invalid_op 0
		.amdhsa_exception_fp_denorm_src 0
		.amdhsa_exception_fp_ieee_div_zero 0
		.amdhsa_exception_fp_ieee_overflow 0
		.amdhsa_exception_fp_ieee_underflow 0
		.amdhsa_exception_fp_ieee_inexact 0
		.amdhsa_exception_int_div_zero 0
	.end_amdhsa_kernel
	.text
.Lfunc_end0:
	.size	fft_rtc_back_len1496_factors_17_8_11_wgs_187_tpt_187_halfLds_half_ip_CI_unitstride_sbrr_R2C_dirReg, .Lfunc_end0-fft_rtc_back_len1496_factors_17_8_11_wgs_187_tpt_187_halfLds_half_ip_CI_unitstride_sbrr_R2C_dirReg
                                        ; -- End function
	.section	.AMDGPU.csdata,"",@progbits
; Kernel info:
; codeLenInByte = 11628
; NumSgprs: 23
; NumVgprs: 139
; ScratchSize: 0
; MemoryBound: 0
; FloatMode: 240
; IeeeMode: 1
; LDSByteSize: 0 bytes/workgroup (compile time only)
; SGPRBlocks: 2
; VGPRBlocks: 17
; NumSGPRsForWavesPerEU: 23
; NumVGPRsForWavesPerEU: 139
; Occupancy: 7
; WaveLimiterHint : 1
; COMPUTE_PGM_RSRC2:SCRATCH_EN: 0
; COMPUTE_PGM_RSRC2:USER_SGPR: 6
; COMPUTE_PGM_RSRC2:TRAP_HANDLER: 0
; COMPUTE_PGM_RSRC2:TGID_X_EN: 1
; COMPUTE_PGM_RSRC2:TGID_Y_EN: 0
; COMPUTE_PGM_RSRC2:TGID_Z_EN: 0
; COMPUTE_PGM_RSRC2:TIDIG_COMP_CNT: 0
	.text
	.p2alignl 6, 3214868480
	.fill 48, 4, 3214868480
	.type	__hip_cuid_8b8b5da26662835f,@object ; @__hip_cuid_8b8b5da26662835f
	.section	.bss,"aw",@nobits
	.globl	__hip_cuid_8b8b5da26662835f
__hip_cuid_8b8b5da26662835f:
	.byte	0                               ; 0x0
	.size	__hip_cuid_8b8b5da26662835f, 1

	.ident	"AMD clang version 19.0.0git (https://github.com/RadeonOpenCompute/llvm-project roc-6.4.0 25133 c7fe45cf4b819c5991fe208aaa96edf142730f1d)"
	.section	".note.GNU-stack","",@progbits
	.addrsig
	.addrsig_sym __hip_cuid_8b8b5da26662835f
	.amdgpu_metadata
---
amdhsa.kernels:
  - .args:
      - .actual_access:  read_only
        .address_space:  global
        .offset:         0
        .size:           8
        .value_kind:     global_buffer
      - .offset:         8
        .size:           8
        .value_kind:     by_value
      - .actual_access:  read_only
        .address_space:  global
        .offset:         16
        .size:           8
        .value_kind:     global_buffer
      - .actual_access:  read_only
        .address_space:  global
        .offset:         24
        .size:           8
        .value_kind:     global_buffer
      - .offset:         32
        .size:           8
        .value_kind:     by_value
      - .actual_access:  read_only
        .address_space:  global
        .offset:         40
        .size:           8
        .value_kind:     global_buffer
      - .actual_access:  read_only
        .address_space:  global
        .offset:         48
        .size:           8
        .value_kind:     global_buffer
      - .offset:         56
        .size:           4
        .value_kind:     by_value
      - .actual_access:  read_only
        .address_space:  global
        .offset:         64
        .size:           8
        .value_kind:     global_buffer
      - .actual_access:  read_only
        .address_space:  global
        .offset:         72
        .size:           8
        .value_kind:     global_buffer
      - .address_space:  global
        .offset:         80
        .size:           8
        .value_kind:     global_buffer
    .group_segment_fixed_size: 0
    .kernarg_segment_align: 8
    .kernarg_segment_size: 88
    .language:       OpenCL C
    .language_version:
      - 2
      - 0
    .max_flat_workgroup_size: 187
    .name:           fft_rtc_back_len1496_factors_17_8_11_wgs_187_tpt_187_halfLds_half_ip_CI_unitstride_sbrr_R2C_dirReg
    .private_segment_fixed_size: 0
    .sgpr_count:     23
    .sgpr_spill_count: 0
    .symbol:         fft_rtc_back_len1496_factors_17_8_11_wgs_187_tpt_187_halfLds_half_ip_CI_unitstride_sbrr_R2C_dirReg.kd
    .uniform_work_group_size: 1
    .uses_dynamic_stack: false
    .vgpr_count:     139
    .vgpr_spill_count: 0
    .wavefront_size: 32
    .workgroup_processor_mode: 1
amdhsa.target:   amdgcn-amd-amdhsa--gfx1030
amdhsa.version:
  - 1
  - 2
...

	.end_amdgpu_metadata
